;; amdgpu-corpus repo=ROCm/rocFFT kind=compiled arch=gfx1030 opt=O3
	.text
	.amdgcn_target "amdgcn-amd-amdhsa--gfx1030"
	.amdhsa_code_object_version 6
	.protected	bluestein_single_back_len2023_dim1_sp_op_CI_CI ; -- Begin function bluestein_single_back_len2023_dim1_sp_op_CI_CI
	.globl	bluestein_single_back_len2023_dim1_sp_op_CI_CI
	.p2align	8
	.type	bluestein_single_back_len2023_dim1_sp_op_CI_CI,@function
bluestein_single_back_len2023_dim1_sp_op_CI_CI: ; @bluestein_single_back_len2023_dim1_sp_op_CI_CI
; %bb.0:
	s_load_dwordx4 s[12:15], s[4:5], 0x28
	v_mul_u32_u24_e32 v1, 0x227, v0
	v_mov_b32_e32 v109, 0
	s_mov_b32 s0, exec_lo
	v_lshrrev_b32_e32 v1, 16, v1
	v_add_nc_u32_e32 v108, s6, v1
	s_waitcnt lgkmcnt(0)
	v_cmpx_gt_u64_e64 s[12:13], v[108:109]
	s_cbranch_execz .LBB0_10
; %bb.1:
	s_clause 0x1
	s_load_dwordx4 s[8:11], s[4:5], 0x18
	s_load_dwordx4 s[0:3], s[4:5], 0x0
	v_mul_lo_u16 v1, 0x77, v1
	s_load_dwordx2 s[4:5], s[4:5], 0x38
	v_sub_nc_u16 v26, v0, v1
	v_and_b32_e32 v146, 0xffff, v26
	v_lshlrev_b32_e32 v145, 3, v146
	s_waitcnt lgkmcnt(0)
	s_load_dwordx4 s[16:19], s[8:9], 0x0
	s_clause 0x2
	global_load_dwordx2 v[117:118], v145, s[0:1]
	global_load_dwordx2 v[115:116], v145, s[0:1] offset:952
	global_load_dwordx2 v[109:110], v145, s[0:1] offset:1904
	v_add_co_u32 v87, s6, s0, v145
	v_add_co_ci_u32_e64 v88, null, s1, 0, s6
	v_add_nc_u32_e32 v47, 0x3000, v145
	v_add_co_u32 v0, vcc_lo, 0x800, v87
	v_add_co_ci_u32_e32 v1, vcc_lo, 0, v88, vcc_lo
	v_add_co_u32 v2, vcc_lo, 0x1000, v87
	v_add_co_ci_u32_e32 v3, vcc_lo, 0, v88, vcc_lo
	v_add_co_u32 v6, vcc_lo, 0x1800, v87
	v_add_co_ci_u32_e32 v7, vcc_lo, 0, v88, vcc_lo
	s_waitcnt lgkmcnt(0)
	v_mad_u64_u32 v[4:5], null, s18, v108, 0
	v_mad_u64_u32 v[8:9], null, s16, v146, 0
	v_add_co_u32 v10, vcc_lo, 0x2000, v87
	v_add_co_ci_u32_e32 v11, vcc_lo, 0, v88, vcc_lo
	v_mad_u64_u32 v[14:15], null, s19, v108, v[5:6]
	v_mad_u64_u32 v[17:18], null, s17, v146, v[9:10]
	v_add_co_u32 v12, vcc_lo, 0x2800, v87
	v_add_co_ci_u32_e32 v13, vcc_lo, 0, v88, vcc_lo
	v_mov_b32_e32 v5, v14
	v_add_co_u32 v15, vcc_lo, 0x3000, v87
	s_clause 0x3
	global_load_dwordx2 v[129:130], v[0:1], off offset:808
	global_load_dwordx2 v[127:128], v[0:1], off offset:1760
	;; [unrolled: 1-line block ×4, first 2 shown]
	v_mov_b32_e32 v9, v17
	v_lshlrev_b64 v[0:1], 3, v[4:5]
	v_add_co_ci_u32_e32 v16, vcc_lo, 0, v88, vcc_lo
	v_add_co_u32 v72, vcc_lo, 0x3800, v87
	v_add_co_ci_u32_e32 v73, vcc_lo, 0, v88, vcc_lo
	v_lshlrev_b64 v[2:3], 3, v[8:9]
	v_add_co_u32 v0, vcc_lo, s14, v0
	v_add_co_ci_u32_e32 v1, vcc_lo, s15, v1, vcc_lo
	s_mul_i32 s0, s17, 0x3b8
	v_add_co_u32 v0, vcc_lo, v0, v2
	v_add_co_ci_u32_e32 v1, vcc_lo, v1, v3, vcc_lo
	s_mul_hi_u32 s1, s16, 0x3b8
	s_mul_i32 s6, s16, 0x3b8
	s_add_i32 s1, s1, s0
	v_add_co_u32 v2, vcc_lo, v0, s6
	v_add_co_ci_u32_e32 v3, vcc_lo, s1, v1, vcc_lo
	s_clause 0x1
	global_load_dwordx2 v[121:122], v[6:7], off offset:520
	global_load_dwordx2 v[119:120], v[6:7], off offset:1472
	v_add_co_u32 v4, vcc_lo, v2, s6
	v_add_co_ci_u32_e32 v5, vcc_lo, s1, v3, vcc_lo
	s_clause 0x1
	global_load_dwordx2 v[113:114], v[10:11], off offset:376
	global_load_dwordx2 v[111:112], v[10:11], off offset:1328
	v_add_co_u32 v6, vcc_lo, v4, s6
	v_add_co_ci_u32_e32 v7, vcc_lo, s1, v5, vcc_lo
	s_clause 0x1
	global_load_dwordx2 v[106:107], v[12:13], off offset:232
	global_load_dwordx2 v[98:99], v[12:13], off offset:1184
	v_add_co_u32 v8, vcc_lo, v6, s6
	v_add_co_ci_u32_e32 v9, vcc_lo, s1, v7, vcc_lo
	s_clause 0x1
	global_load_dwordx2 v[100:101], v[15:16], off offset:88
	global_load_dwordx2 v[96:97], v[15:16], off offset:1040
	s_clause 0x3
	global_load_dwordx2 v[10:11], v[0:1], off
	global_load_dwordx2 v[12:13], v[2:3], off
	;; [unrolled: 1-line block ×4, first 2 shown]
	v_add_co_u32 v0, vcc_lo, v8, s6
	v_add_co_ci_u32_e32 v1, vcc_lo, s1, v9, vcc_lo
	global_load_dwordx2 v[7:8], v[8:9], off
	v_add_co_u32 v17, vcc_lo, v0, s6
	v_add_co_ci_u32_e32 v18, vcc_lo, s1, v1, vcc_lo
	global_load_dwordx2 v[19:20], v[0:1], off
	;; [unrolled: 3-line block ×11, first 2 shown]
	v_add_co_u32 v27, vcc_lo, v0, s6
	v_add_co_ci_u32_e32 v28, vcc_lo, s1, v1, vcc_lo
	global_load_dwordx2 v[102:103], v[15:16], off offset:1992
	global_load_dwordx2 v[14:15], v[0:1], off
	global_load_dwordx2 v[104:105], v[72:73], off offset:896
	global_load_dwordx2 v[41:42], v[27:28], off
	v_add_nc_u32_e32 v28, 0x400, v145
	v_add_nc_u32_e32 v2, 0xc00, v145
	;; [unrolled: 1-line block ×6, first 2 shown]
	s_load_dwordx4 s[8:11], s[10:11], 0x0
	v_cmp_gt_u16_e32 vcc_lo, 51, v26
	s_waitcnt vmcnt(18)
	v_mul_f32_e32 v9, v11, v118
	v_mul_f32_e32 v25, v10, v118
	s_waitcnt vmcnt(17)
	v_mul_f32_e32 v43, v13, v116
	s_waitcnt vmcnt(15)
	v_mul_f32_e32 v45, v6, v130
	v_mul_f32_e32 v46, v5, v130
	v_fmac_f32_e32 v9, v10, v117
	v_fma_f32 v10, v11, v117, -v25
	v_mul_f32_e32 v25, v12, v116
	v_fmac_f32_e32 v43, v12, v115
	v_mul_f32_e32 v11, v4, v110
	v_mul_f32_e32 v12, v3, v110
	v_fmac_f32_e32 v45, v5, v129
	v_fma_f32 v44, v13, v115, -v25
	v_fma_f32 v46, v6, v129, -v46
	v_fmac_f32_e32 v11, v3, v109
	v_fma_f32 v12, v4, v109, -v12
	s_waitcnt vmcnt(14)
	v_mul_f32_e32 v3, v8, v128
	v_mul_f32_e32 v4, v7, v128
	s_waitcnt vmcnt(13)
	v_mul_f32_e32 v5, v20, v126
	v_mul_f32_e32 v6, v19, v126
	ds_write2_b64 v145, v[9:10], v[43:44] offset1:119
	v_fmac_f32_e32 v3, v7, v127
	v_fma_f32 v4, v8, v127, -v4
	s_waitcnt vmcnt(12)
	v_mul_f32_e32 v7, v18, v124
	v_mul_f32_e32 v8, v17, v124
	s_waitcnt vmcnt(11)
	v_mul_f32_e32 v9, v24, v122
	v_mul_f32_e32 v10, v23, v122
	v_fmac_f32_e32 v5, v19, v125
	v_fma_f32 v6, v20, v125, -v6
	v_fmac_f32_e32 v7, v17, v123
	v_fma_f32 v8, v18, v123, -v8
	v_fmac_f32_e32 v9, v23, v121
	v_fma_f32 v10, v24, v121, -v10
	ds_write2_b64 v28, v[11:12], v[45:46] offset0:110 offset1:229
	s_waitcnt vmcnt(10)
	v_mul_f32_e32 v12, v21, v120
	v_mul_f32_e32 v11, v22, v120
	ds_write2_b64 v2, v[3:4], v[5:6] offset0:92 offset1:211
	s_waitcnt vmcnt(9)
	v_mul_f32_e32 v3, v30, v114
	v_mul_f32_e32 v4, v29, v114
	ds_write2_b64 v1, v[7:8], v[9:10] offset0:74 offset1:193
	s_waitcnt vmcnt(8)
	v_mul_f32_e32 v5, v32, v112
	v_mul_f32_e32 v6, v31, v112
	v_fma_f32 v12, v22, v119, -v12
	s_waitcnt vmcnt(7)
	v_mul_f32_e32 v7, v34, v107
	v_mul_f32_e32 v8, v33, v107
	v_fmac_f32_e32 v11, v21, v119
	v_fmac_f32_e32 v3, v29, v113
	v_fma_f32 v4, v30, v113, -v4
	s_waitcnt vmcnt(6)
	v_mul_f32_e32 v9, v36, v99
	v_mul_f32_e32 v10, v35, v99
	v_fmac_f32_e32 v5, v31, v111
	v_fma_f32 v6, v32, v111, -v6
	v_fmac_f32_e32 v7, v33, v106
	s_waitcnt vmcnt(5)
	v_mul_f32_e32 v13, v37, v101
	v_mul_f32_e32 v17, v38, v101
	v_fma_f32 v8, v34, v106, -v8
	v_fmac_f32_e32 v9, v35, v98
	v_fma_f32 v10, v36, v98, -v10
	s_waitcnt vmcnt(4)
	v_mul_f32_e32 v19, v40, v97
	v_fma_f32 v18, v38, v100, -v13
	v_mul_f32_e32 v20, v39, v97
	s_waitcnt vmcnt(2)
	v_mul_f32_e32 v13, v15, v103
	v_mul_f32_e32 v22, v14, v103
	s_waitcnt vmcnt(0)
	v_mul_f32_e32 v21, v42, v105
	v_mul_f32_e32 v23, v41, v105
	v_fmac_f32_e32 v17, v37, v100
	v_fmac_f32_e32 v19, v39, v96
	v_fma_f32 v20, v40, v96, -v20
	v_fmac_f32_e32 v13, v14, v102
	v_fma_f32 v14, v15, v102, -v22
	;; [unrolled: 2-line block ×3, first 2 shown]
	ds_write2_b64 v0, v[11:12], v[3:4] offset0:56 offset1:175
	ds_write2_b64 v16, v[5:6], v[7:8] offset0:38 offset1:157
	;; [unrolled: 1-line block ×4, first 2 shown]
	ds_write_b64 v145, v[21:22] offset:15232
	s_waitcnt lgkmcnt(0)
	s_barrier
	buffer_gl0_inv
	ds_read2_b64 v[8:11], v145 offset1:119
	ds_read_b64 v[24:25], v145 offset:15232
	ds_read2_b64 v[20:23], v28 offset0:110 offset1:229
	ds_read2_b64 v[4:7], v47 offset0:130 offset1:249
	;; [unrolled: 1-line block ×7, first 2 shown]
	s_waitcnt lgkmcnt(0)
	s_barrier
	buffer_gl0_inv
	v_add_f32_e32 v36, v8, v10
	v_add_f32_e32 v37, v9, v11
	;; [unrolled: 1-line block ×3, first 2 shown]
	v_sub_f32_e32 v11, v11, v25
	v_add_f32_e32 v38, v24, v10
	v_add_f32_e32 v40, v6, v20
	;; [unrolled: 1-line block ×3, first 2 shown]
	v_sub_f32_e32 v42, v20, v6
	v_sub_f32_e32 v43, v21, v7
	v_add_f32_e32 v20, v36, v20
	v_add_f32_e32 v21, v37, v21
	v_mul_f32_e32 v36, 0xbeb8f4ab, v11
	v_mul_f32_e32 v52, 0xbf2c7751, v11
	;; [unrolled: 1-line block ×8, first 2 shown]
	v_sub_f32_e32 v10, v10, v24
	v_add_f32_e32 v44, v4, v22
	v_sub_f32_e32 v46, v22, v4
	v_add_f32_e32 v20, v20, v22
	v_add_f32_e32 v21, v21, v23
	v_fma_f32 v22, 0x3f6eb680, v38, -v36
	v_fmac_f32_e32 v36, 0x3f6eb680, v38
	v_fma_f32 v140, 0x3f3d2fb0, v38, -v52
	v_fmac_f32_e32 v52, 0x3f3d2fb0, v38
	;; [unrolled: 2-line block ×8, first 2 shown]
	v_mul_f32_e32 v37, 0xbeb8f4ab, v10
	v_mul_f32_e32 v53, 0xbf2c7751, v10
	;; [unrolled: 1-line block ×8, first 2 shown]
	v_add_f32_e32 v22, v8, v22
	v_add_f32_e32 v36, v8, v36
	;; [unrolled: 1-line block ×18, first 2 shown]
	v_sub_f32_e32 v47, v23, v5
	v_fmamk_f32 v23, v39, 0x3f6eb680, v37
	v_fma_f32 v37, 0x3f6eb680, v39, -v37
	v_fmamk_f32 v141, v39, 0x3f3d2fb0, v53
	v_fma_f32 v53, 0x3f3d2fb0, v39, -v53
	;; [unrolled: 2-line block ×8, first 2 shown]
	v_add_f32_e32 v11, v11, v31
	v_add_f32_e32 v23, v9, v23
	;; [unrolled: 1-line block ×19, first 2 shown]
	v_mul_f32_e32 v64, 0xbf2c7751, v43
	v_mul_f32_e32 v65, 0xbf2c7751, v42
	;; [unrolled: 1-line block ×3, first 2 shown]
	v_add_f32_e32 v10, v10, v30
	v_add_f32_e32 v11, v11, v15
	v_mul_f32_e32 v67, 0xbf7ee86f, v42
	v_mul_f32_e32 v68, 0xbf4c4adb, v43
	;; [unrolled: 1-line block ×3, first 2 shown]
	v_add_f32_e32 v10, v10, v12
	v_add_f32_e32 v11, v11, v1
	v_sub_f32_e32 v49, v29, v35
	v_sub_f32_e32 v50, v28, v34
	v_mul_f32_e32 v70, 0xbe3c28d5, v43
	v_add_f32_e32 v10, v10, v14
	v_add_f32_e32 v11, v11, v3
	v_mul_f32_e32 v71, 0xbe3c28d5, v42
	v_mul_f32_e32 v74, 0x3f06c442, v43
	v_mul_f32_e32 v75, 0x3f06c442, v42
	v_add_f32_e32 v10, v10, v0
	v_add_f32_e32 v11, v11, v17
	v_mul_f32_e32 v76, 0x3f763a35, v43
	v_mul_f32_e32 v77, 0x3f763a35, v42
	;; [unrolled: 5-line block ×4, first 2 shown]
	v_mul_f32_e32 v82, 0x3e3c28d5, v47
	v_add_f32_e32 v10, v10, v18
	v_add_f32_e32 v11, v11, v35
	v_mul_f32_e32 v91, 0x3e3c28d5, v46
	v_fma_f32 v38, 0x3f3d2fb0, v40, -v64
	v_fmamk_f32 v39, v41, 0x3f3d2fb0, v65
	v_fmac_f32_e32 v64, 0x3f3d2fb0, v40
	v_fma_f32 v65, 0x3f3d2fb0, v41, -v65
	v_fma_f32 v156, 0x3dbcf732, v40, -v66
	v_fmamk_f32 v157, v41, 0x3dbcf732, v67
	v_fmac_f32_e32 v66, 0x3dbcf732, v40
	v_fma_f32 v67, 0x3dbcf732, v41, -v67
	;; [unrolled: 4-line block ×3, first 2 shown]
	v_add_f32_e32 v10, v10, v32
	v_add_f32_e32 v5, v11, v5
	;; [unrolled: 1-line block ×4, first 2 shown]
	v_mul_f32_e32 v83, 0x3f763a35, v47
	v_mul_f32_e32 v84, 0x3f2c7751, v47
	;; [unrolled: 1-line block ×11, first 2 shown]
	v_fma_f32 v160, 0xbf7ba420, v40, -v70
	v_fmamk_f32 v161, v41, 0xbf7ba420, v71
	v_fmac_f32_e32 v70, 0xbf7ba420, v40
	v_fma_f32 v71, 0xbf7ba420, v41, -v71
	v_fma_f32 v162, 0xbf59a7d5, v40, -v74
	v_fmamk_f32 v163, v41, 0xbf59a7d5, v75
	v_fmac_f32_e32 v74, 0xbf59a7d5, v40
	v_fma_f32 v75, 0xbf59a7d5, v41, -v75
	;; [unrolled: 4-line block ×3, first 2 shown]
	v_fma_f32 v166, 0x3ee437d1, v40, -v78
	v_fmac_f32_e32 v78, 0x3ee437d1, v40
	v_fma_f32 v167, 0x3f6eb680, v40, -v43
	v_fmac_f32_e32 v43, 0x3f6eb680, v40
	v_fmamk_f32 v40, v41, 0x3ee437d1, v79
	v_fma_f32 v79, 0x3ee437d1, v41, -v79
	v_fmamk_f32 v168, v41, 0x3f6eb680, v42
	v_fma_f32 v41, 0x3f6eb680, v41, -v42
	v_fma_f32 v42, 0x3ee437d1, v44, -v80
	v_fma_f32 v169, 0xbf1a4643, v44, -v81
	v_fmac_f32_e32 v81, 0xbf1a4643, v44
	v_fma_f32 v170, 0xbf7ba420, v44, -v82
	v_fmac_f32_e32 v82, 0xbf7ba420, v44
	v_fmamk_f32 v177, v45, 0xbf7ba420, v91
	v_fma_f32 v91, 0xbf7ba420, v45, -v91
	v_add_f32_e32 v20, v38, v22
	v_add_f32_e32 v21, v39, v23
	;; [unrolled: 1-line block ×10, first 2 shown]
	v_mul_f32_e32 v90, 0xbf4c4adb, v46
	v_mul_f32_e32 v137, 0x3eb8f4ab, v49
	v_fmac_f32_e32 v80, 0x3ee437d1, v44
	v_fma_f32 v171, 0xbe8c1d8e, v44, -v83
	v_fmac_f32_e32 v83, 0xbe8c1d8e, v44
	v_fma_f32 v172, 0x3f3d2fb0, v44, -v84
	v_fmac_f32_e32 v84, 0x3f3d2fb0, v44
	v_fma_f32 v173, 0x3f6eb680, v44, -v85
	v_fmac_f32_e32 v85, 0x3f6eb680, v44
	v_fma_f32 v174, 0x3dbcf732, v44, -v86
	v_fmac_f32_e32 v86, 0x3dbcf732, v44
	v_fma_f32 v175, 0xbf59a7d5, v44, -v47
	v_fmac_f32_e32 v47, 0xbf59a7d5, v44
	v_fmamk_f32 v44, v45, 0x3ee437d1, v89
	v_fmamk_f32 v178, v45, 0xbe8c1d8e, v92
	;; [unrolled: 1-line block ×3, first 2 shown]
	v_fma_f32 v184, 0xbf7ba420, v48, -v133
	v_fmac_f32_e32 v133, 0xbf7ba420, v48
	v_fma_f32 v186, 0xbe8c1d8e, v48, -v135
	v_fmamk_f32 v187, v51, 0xbe8c1d8e, v136
	v_fmac_f32_e32 v135, 0xbe8c1d8e, v48
	v_fma_f32 v136, 0xbe8c1d8e, v51, -v136
	v_add_f32_e32 v38, v158, v142
	v_add_f32_e32 v54, v160, v144
	;; [unrolled: 1-line block ×12, first 2 shown]
	v_mul_f32_e32 v25, 0xbf65296c, v50
	v_mul_f32_e32 v95, 0xbf7ee86f, v46
	v_mul_f32_e32 v134, 0xbe3c28d5, v50
	v_mul_f32_e32 v138, 0x3eb8f4ab, v50
	v_mul_f32_e32 v139, 0xbf65296c, v49
	v_fmamk_f32 v176, v45, 0xbf1a4643, v90
	v_fma_f32 v90, 0xbf1a4643, v45, -v90
	v_fma_f32 v92, 0xbe8c1d8e, v45, -v92
	;; [unrolled: 1-line block ×4, first 2 shown]
	v_fmac_f32_e32 v137, 0x3f6eb680, v48
	v_add_f32_e32 v57, v71, v57
	v_add_f32_e32 v64, v162, v148
	;; [unrolled: 1-line block ×16, first 2 shown]
	v_mul_f32_e32 v41, 0xbf06c442, v49
	v_fmamk_f32 v42, v51, 0x3ee437d1, v25
	v_mul_f32_e32 v94, 0xbeb8f4ab, v46
	v_mul_f32_e32 v46, 0xbf06c442, v46
	;; [unrolled: 1-line block ×3, first 2 shown]
	v_fmamk_f32 v181, v45, 0x3dbcf732, v95
	v_fmamk_f32 v185, v51, 0xbf7ba420, v134
	v_fma_f32 v134, 0xbf7ba420, v51, -v134
	v_fmamk_f32 v189, v51, 0x3f6eb680, v138
	v_add_f32_e32 v39, v159, v143
	v_add_f32_e32 v40, v40, v153
	;; [unrolled: 1-line block ×11, first 2 shown]
	v_fma_f32 v24, 0x3ee437d1, v48, -v139
	v_add_f32_e32 v38, v137, v52
	v_fma_f32 v25, 0x3ee437d1, v51, -v25
	v_fma_f32 v43, 0xbf59a7d5, v48, -v41
	v_add_f32_e32 v42, v42, v55
	v_mul_f32_e32 v52, 0x3f4c4adb, v50
	v_sub_f32_e32 v55, v31, v33
	v_mul_f32_e32 v132, 0xbf7ee86f, v50
	v_fma_f32 v89, 0x3ee437d1, v45, -v89
	v_fmamk_f32 v180, v45, 0x3f6eb680, v94
	v_fma_f32 v94, 0x3f6eb680, v45, -v94
	v_fma_f32 v95, 0x3dbcf732, v45, -v95
	v_fmamk_f32 v182, v45, 0xbf59a7d5, v46
	v_fma_f32 v45, 0xbf59a7d5, v45, -v46
	v_fma_f32 v46, 0x3dbcf732, v48, -v131
	;; [unrolled: 1-line block ×3, first 2 shown]
	v_add_f32_e32 v39, v177, v39
	v_add_f32_e32 v40, v181, v40
	;; [unrolled: 1-line block ×6, first 2 shown]
	v_mul_f32_e32 v44, 0xbf06c442, v50
	v_add_f32_e32 v25, v25, v57
	v_add_f32_e32 v43, v43, v58
	v_mul_f32_e32 v47, 0x3f4c4adb, v49
	v_fmamk_f32 v54, v51, 0xbf1a4643, v52
	v_mul_f32_e32 v49, 0x3f2c7751, v49
	v_mul_f32_e32 v50, 0x3f2c7751, v50
	v_add_f32_e32 v57, v32, v30
	v_mul_f32_e32 v58, 0xbf763a35, v55
	v_sub_f32_e32 v30, v30, v32
	v_fmamk_f32 v183, v51, 0x3dbcf732, v132
	v_fmac_f32_e32 v131, 0x3dbcf732, v48
	v_fma_f32 v132, 0x3dbcf732, v51, -v132
	v_add_f32_e32 v28, v156, v140
	v_add_f32_e32 v29, v157, v141
	;; [unrolled: 1-line block ×7, first 2 shown]
	v_fmac_f32_e32 v139, 0x3ee437d1, v48
	v_fmac_f32_e32 v41, 0xbf59a7d5, v48
	v_fma_f32 v53, 0xbf1a4643, v48, -v47
	v_fmac_f32_e32 v47, 0xbf1a4643, v48
	v_add_f32_e32 v40, v54, v40
	v_fma_f32 v54, 0x3f3d2fb0, v48, -v49
	v_fmac_f32_e32 v49, 0x3f3d2fb0, v48
	v_fma_f32 v32, 0x3f3d2fb0, v51, -v50
	v_add_f32_e32 v31, v33, v31
	v_fma_f32 v33, 0xbe8c1d8e, v57, -v58
	v_mul_f32_e32 v48, 0xbf763a35, v30
	v_add_f32_e32 v28, v169, v28
	v_add_f32_e32 v29, v176, v29
	;; [unrolled: 1-line block ×7, first 2 shown]
	v_fmamk_f32 v32, v31, 0xbe8c1d8e, v48
	v_mul_f32_e32 v33, 0x3f06c442, v55
	v_fma_f32 v48, 0xbe8c1d8e, v31, -v48
	v_mul_f32_e32 v49, 0x3f06c442, v30
	v_add_f32_e32 v70, v168, v155
	v_add_f32_e32 v28, v184, v28
	;; [unrolled: 1-line block ×4, first 2 shown]
	v_fmamk_f32 v46, v51, 0xbf59a7d5, v44
	v_fma_f32 v44, 0xbf59a7d5, v51, -v44
	v_fma_f32 v52, 0xbf1a4643, v51, -v52
	v_fmamk_f32 v56, v51, 0x3f3d2fb0, v50
	v_add_f32_e32 v21, v32, v21
	v_fma_f32 v32, 0xbf59a7d5, v57, -v33
	v_add_f32_e32 v23, v48, v23
	v_fmamk_f32 v48, v31, 0xbf59a7d5, v49
	v_mul_f32_e32 v51, 0x3f2c7751, v55
	v_add_f32_e32 v66, v182, v70
	v_add_f32_e32 v28, v32, v28
	v_fmac_f32_e32 v33, 0xbf59a7d5, v57
	v_fma_f32 v32, 0xbf59a7d5, v31, -v49
	v_add_f32_e32 v29, v48, v29
	v_fma_f32 v48, 0x3f3d2fb0, v57, -v51
	v_mul_f32_e32 v49, 0x3f2c7751, v30
	v_add_f32_e32 v50, v56, v66
	v_add_f32_e32 v33, v33, v34
	v_add_f32_e32 v32, v32, v35
	v_mul_f32_e32 v34, 0xbf65296c, v55
	v_add_f32_e32 v10, v48, v10
	v_fmamk_f32 v35, v31, 0x3f3d2fb0, v49
	v_fmac_f32_e32 v51, 0x3f3d2fb0, v57
	v_fma_f32 v48, 0x3f3d2fb0, v31, -v49
	v_mul_f32_e32 v56, 0xbf65296c, v30
	v_fma_f32 v49, 0x3ee437d1, v57, -v34
	v_add_f32_e32 v11, v35, v11
	v_add_f32_e32 v35, v51, v36
	;; [unrolled: 1-line block ×3, first 2 shown]
	v_fmamk_f32 v36, v31, 0x3ee437d1, v56
	v_mul_f32_e32 v48, 0xbe3c28d5, v55
	v_add_f32_e32 v7, v49, v7
	v_fmac_f32_e32 v34, 0x3ee437d1, v57
	v_fma_f32 v49, 0x3ee437d1, v31, -v56
	v_mul_f32_e32 v51, 0xbe3c28d5, v30
	v_add_f32_e32 v36, v36, v37
	v_fma_f32 v37, 0xbf7ba420, v57, -v48
	v_add_f32_e32 v67, v165, v151
	v_add_f32_e32 v68, v166, v152
	v_add_f32_e32 v34, v34, v38
	v_add_f32_e32 v38, v49, v39
	v_fmamk_f32 v39, v31, 0xbf7ba420, v51
	v_mul_f32_e32 v49, 0x3f7ee86f, v55
	v_add_f32_e32 v24, v37, v24
	v_fma_f32 v37, 0xbf7ba420, v31, -v51
	v_add_f32_e32 v60, v76, v60
	v_add_f32_e32 v61, v77, v61
	;; [unrolled: 1-line block ×6, first 2 shown]
	v_fmac_f32_e32 v48, 0xbf7ba420, v57
	v_add_f32_e32 v39, v39, v42
	v_fma_f32 v42, 0x3dbcf732, v57, -v49
	v_mul_f32_e32 v51, 0x3f7ee86f, v30
	v_add_f32_e32 v25, v37, v25
	v_mul_f32_e32 v37, 0xbeb8f4ab, v55
	v_add_f32_e32 v60, v85, v60
	v_add_f32_e32 v61, v94, v61
	;; [unrolled: 1-line block ×8, first 2 shown]
	v_fmamk_f32 v43, v31, 0x3dbcf732, v51
	v_fma_f32 v48, 0x3dbcf732, v31, -v51
	v_fma_f32 v51, 0x3f6eb680, v57, -v37
	v_mul_f32_e32 v56, 0xbeb8f4ab, v30
	v_add_f32_e32 v41, v41, v60
	v_add_f32_e32 v44, v44, v61
	v_add_f32_e32 v47, v47, v62
	v_add_f32_e32 v52, v52, v63
	v_fmac_f32_e32 v49, 0x3dbcf732, v57
	v_add_f32_e32 v43, v43, v46
	v_add_f32_e32 v46, v51, v53
	v_fmac_f32_e32 v37, 0x3f6eb680, v57
	v_fma_f32 v51, 0x3f6eb680, v31, -v56
	v_add_f32_e32 v41, v49, v41
	v_add_f32_e32 v44, v48, v44
	v_fmamk_f32 v48, v31, 0x3f6eb680, v56
	v_mul_f32_e32 v49, 0xbf4c4adb, v55
	v_mul_f32_e32 v30, 0xbf4c4adb, v30
	v_add_f32_e32 v37, v37, v47
	v_add_f32_e32 v47, v51, v52
	v_sub_f32_e32 v51, v13, v19
	v_add_f32_e32 v52, v18, v12
	v_sub_f32_e32 v12, v12, v18
	v_add_f32_e32 v22, v80, v22
	v_add_f32_e32 v40, v48, v40
	v_fma_f32 v48, 0xbf1a4643, v57, -v49
	v_fmamk_f32 v53, v31, 0xbf1a4643, v30
	v_mul_f32_e32 v18, 0xbf4c4adb, v51
	v_fmac_f32_e32 v49, 0xbf1a4643, v57
	v_fma_f32 v30, 0xbf1a4643, v31, -v30
	v_add_f32_e32 v13, v19, v13
	v_mul_f32_e32 v19, 0xbf4c4adb, v12
	v_add_f32_e32 v22, v131, v22
	v_fmac_f32_e32 v58, 0xbe8c1d8e, v57
	v_fma_f32 v31, 0xbf1a4643, v52, -v18
	v_add_f32_e32 v8, v49, v8
	v_add_f32_e32 v9, v30, v9
	v_mul_f32_e32 v30, 0x3f763a35, v51
	v_fmamk_f32 v49, v13, 0xbf1a4643, v19
	v_add_f32_e32 v22, v58, v22
	v_add_f32_e32 v20, v31, v20
	v_fmac_f32_e32 v18, 0xbf1a4643, v52
	v_fma_f32 v31, 0xbe8c1d8e, v52, -v30
	v_add_f32_e32 v21, v49, v21
	v_mul_f32_e32 v49, 0x3f763a35, v12
	v_fma_f32 v19, 0xbf1a4643, v13, -v19
	v_add_f32_e32 v18, v18, v22
	v_add_f32_e32 v22, v31, v28
	v_fmac_f32_e32 v30, 0xbe8c1d8e, v52
	v_fmamk_f32 v28, v13, 0xbe8c1d8e, v49
	v_fma_f32 v31, 0xbe8c1d8e, v13, -v49
	v_mul_f32_e32 v49, 0xbeb8f4ab, v12
	v_add_f32_e32 v19, v19, v23
	v_mul_f32_e32 v23, 0xbeb8f4ab, v51
	v_add_f32_e32 v28, v28, v29
	v_add_f32_e32 v29, v30, v33
	;; [unrolled: 1-line block ×3, first 2 shown]
	v_fmamk_f32 v31, v13, 0x3f6eb680, v49
	v_add_f32_e32 v50, v53, v50
	v_fma_f32 v53, 0x3f6eb680, v52, -v23
	v_mul_f32_e32 v32, 0xbf06c442, v51
	v_fmac_f32_e32 v23, 0x3f6eb680, v52
	v_fma_f32 v33, 0x3f6eb680, v13, -v49
	v_add_f32_e32 v11, v31, v11
	v_mul_f32_e32 v31, 0xbf06c442, v12
	v_fma_f32 v49, 0xbf59a7d5, v52, -v32
	v_add_f32_e32 v23, v23, v35
	v_add_f32_e32 v6, v33, v6
	v_mul_f32_e32 v33, 0x3f7ee86f, v51
	v_fmamk_f32 v35, v13, 0xbf59a7d5, v31
	v_fmac_f32_e32 v32, 0xbf59a7d5, v52
	v_add_f32_e32 v7, v49, v7
	v_fma_f32 v31, 0xbf59a7d5, v13, -v31
	v_fma_f32 v49, 0x3dbcf732, v52, -v33
	v_add_f32_e32 v35, v35, v36
	v_mul_f32_e32 v36, 0x3f7ee86f, v12
	v_add_f32_e32 v32, v32, v34
	v_mul_f32_e32 v34, 0xbf2c7751, v51
	v_add_f32_e32 v69, v167, v154
	v_add_f32_e32 v10, v53, v10
	;; [unrolled: 1-line block ×4, first 2 shown]
	v_fmamk_f32 v38, v13, 0x3dbcf732, v36
	v_fmac_f32_e32 v33, 0x3dbcf732, v52
	v_fma_f32 v36, 0x3dbcf732, v13, -v36
	v_mul_f32_e32 v49, 0xbf2c7751, v12
	v_fma_f32 v53, 0x3f3d2fb0, v52, -v34
	v_add_f32_e32 v65, v175, v69
	v_add_f32_e32 v38, v38, v39
	;; [unrolled: 1-line block ×4, first 2 shown]
	v_fmamk_f32 v36, v13, 0x3f3d2fb0, v49
	v_add_f32_e32 v39, v53, v42
	v_mul_f32_e32 v42, 0xbe3c28d5, v51
	v_fmac_f32_e32 v34, 0x3f3d2fb0, v52
	v_fma_f32 v45, 0x3f3d2fb0, v13, -v49
	v_add_f32_e32 v54, v54, v65
	v_add_f32_e32 v36, v36, v43
	v_mul_f32_e32 v43, 0xbe3c28d5, v12
	v_fma_f32 v49, 0xbf7ba420, v52, -v42
	v_add_f32_e32 v34, v34, v41
	v_add_f32_e32 v41, v45, v44
	v_mul_f32_e32 v44, 0x3f65296c, v51
	v_add_f32_e32 v48, v48, v54
	v_fmamk_f32 v45, v13, 0xbf7ba420, v43
	v_add_f32_e32 v46, v49, v46
	v_fmac_f32_e32 v42, 0xbf7ba420, v52
	v_fma_f32 v43, 0xbf7ba420, v13, -v43
	v_fma_f32 v49, 0x3ee437d1, v52, -v44
	v_add_f32_e32 v40, v45, v40
	v_mul_f32_e32 v12, 0x3f65296c, v12
	v_add_f32_e32 v37, v42, v37
	v_add_f32_e32 v42, v43, v47
	;; [unrolled: 1-line block ×3, first 2 shown]
	v_sub_f32_e32 v45, v15, v17
	v_sub_f32_e32 v48, v14, v16
	v_fmamk_f32 v47, v13, 0x3ee437d1, v12
	v_fmac_f32_e32 v44, 0x3ee437d1, v52
	v_add_f32_e32 v14, v16, v14
	v_mul_f32_e32 v16, 0xbf06c442, v45
	v_fma_f32 v12, 0x3ee437d1, v13, -v12
	v_add_f32_e32 v13, v17, v15
	v_mul_f32_e32 v15, 0xbf06c442, v48
	v_add_f32_e32 v17, v47, v50
	v_fma_f32 v47, 0xbf59a7d5, v14, -v16
	v_add_f32_e32 v8, v44, v8
	v_add_f32_e32 v9, v12, v9
	v_fmamk_f32 v12, v13, 0xbf59a7d5, v15
	v_mul_f32_e32 v44, 0x3f65296c, v45
	v_add_f32_e32 v20, v47, v20
	v_fmac_f32_e32 v16, 0xbf59a7d5, v14
	v_fma_f32 v15, 0xbf59a7d5, v13, -v15
	v_add_f32_e32 v12, v12, v21
	v_fma_f32 v21, 0x3ee437d1, v14, -v44
	v_mul_f32_e32 v47, 0x3f65296c, v48
	v_add_f32_e32 v16, v16, v18
	v_add_f32_e32 v15, v15, v19
	v_mul_f32_e32 v18, 0xbf7ee86f, v45
	v_add_f32_e32 v19, v21, v22
	v_fmamk_f32 v21, v13, 0x3ee437d1, v47
	v_fmac_f32_e32 v44, 0x3ee437d1, v14
	v_fma_f32 v22, 0x3ee437d1, v13, -v47
	v_mul_f32_e32 v49, 0xbf7ee86f, v48
	v_fma_f32 v47, 0x3dbcf732, v14, -v18
	v_add_f32_e32 v21, v21, v28
	v_add_f32_e32 v28, v44, v29
	;; [unrolled: 1-line block ×3, first 2 shown]
	v_fmamk_f32 v29, v13, 0x3dbcf732, v49
	v_mul_f32_e32 v30, 0x3f4c4adb, v45
	v_add_f32_e32 v10, v47, v10
	v_fmac_f32_e32 v18, 0x3dbcf732, v14
	v_fma_f32 v44, 0x3dbcf732, v13, -v49
	v_mul_f32_e32 v47, 0x3f4c4adb, v48
	v_add_f32_e32 v11, v29, v11
	v_fma_f32 v29, 0xbf1a4643, v14, -v30
	v_add_f32_e32 v18, v18, v23
	v_add_f32_e32 v23, v44, v6
	v_fmamk_f32 v6, v13, 0xbf1a4643, v47
	v_mul_f32_e32 v44, 0xbeb8f4ab, v45
	v_add_f32_e32 v29, v29, v7
	v_fma_f32 v7, 0xbf1a4643, v13, -v47
	v_fmac_f32_e32 v30, 0xbf1a4643, v14
	v_add_f32_e32 v35, v6, v35
	v_fma_f32 v6, 0x3f6eb680, v14, -v44
	v_mul_f32_e32 v47, 0xbeb8f4ab, v48
	v_add_f32_e32 v31, v7, v31
	v_mul_f32_e32 v7, 0xbe3c28d5, v45
	v_add_f32_e32 v30, v30, v32
	v_add_f32_e32 v24, v6, v24
	v_fmamk_f32 v6, v13, 0x3f6eb680, v47
	v_fma_f32 v32, 0x3f6eb680, v13, -v47
	v_fma_f32 v47, 0xbf7ba420, v14, -v7
	v_mul_f32_e32 v49, 0xbe3c28d5, v48
	v_fmac_f32_e32 v44, 0x3f6eb680, v14
	v_add_f32_e32 v38, v6, v38
	v_add_f32_e32 v25, v32, v25
	;; [unrolled: 1-line block ×3, first 2 shown]
	v_fmamk_f32 v6, v13, 0xbf7ba420, v49
	v_mul_f32_e32 v39, 0x3f2c7751, v45
	v_add_f32_e32 v33, v44, v33
	v_fmac_f32_e32 v7, 0xbf7ba420, v14
	v_mul_f32_e32 v44, 0x3f2c7751, v48
	v_fma_f32 v47, 0xbf7ba420, v13, -v49
	v_add_f32_e32 v36, v6, v36
	v_fma_f32 v6, 0x3f3d2fb0, v14, -v39
	v_add_f32_e32 v34, v7, v34
	v_fmamk_f32 v7, v13, 0x3f3d2fb0, v44
	v_add_f32_e32 v41, v47, v41
	v_mul_f32_e32 v45, 0xbf763a35, v45
	v_add_f32_e32 v46, v6, v46
	v_fmac_f32_e32 v39, 0x3f3d2fb0, v14
	v_fma_f32 v6, 0x3f3d2fb0, v13, -v44
	v_mul_f32_e32 v44, 0xbf763a35, v48
	v_add_f32_e32 v47, v2, v0
	v_sub_f32_e32 v0, v0, v2
	v_add_f32_e32 v40, v7, v40
	v_fma_f32 v7, 0xbe8c1d8e, v14, -v45
	v_add_f32_e32 v37, v39, v37
	v_sub_f32_e32 v39, v1, v3
	v_add_f32_e32 v42, v6, v42
	v_fmamk_f32 v6, v13, 0xbe8c1d8e, v44
	v_fmac_f32_e32 v45, 0xbe8c1d8e, v14
	v_fma_f32 v2, 0xbe8c1d8e, v13, -v44
	v_add_f32_e32 v3, v3, v1
	v_mul_f32_e32 v13, 0xbe3c28d5, v0
	v_add_f32_e32 v43, v7, v43
	v_mul_f32_e32 v7, 0xbe3c28d5, v39
	v_add_f32_e32 v45, v45, v8
	v_add_f32_e32 v48, v2, v9
	v_fmamk_f32 v2, v3, 0xbf7ba420, v13
	v_mul_f32_e32 v8, 0x3eb8f4ab, v39
	v_fma_f32 v1, 0xbf7ba420, v47, -v7
	v_add_f32_e32 v44, v6, v17
	v_fmac_f32_e32 v7, 0xbf7ba420, v47
	v_fma_f32 v6, 0xbf7ba420, v3, -v13
	v_mul_f32_e32 v9, 0x3eb8f4ab, v0
	v_add_f32_e32 v2, v2, v12
	v_fma_f32 v12, 0x3f6eb680, v47, -v8
	v_mul_f32_e32 v13, 0xbf06c442, v39
	v_add_f32_e32 v66, v7, v16
	v_add_f32_e32 v67, v6, v15
	v_fmamk_f32 v7, v3, 0x3f6eb680, v9
	v_add_f32_e32 v6, v12, v19
	v_fmac_f32_e32 v8, 0x3f6eb680, v47
	v_fma_f32 v9, 0x3f6eb680, v3, -v9
	v_fma_f32 v12, 0xbf59a7d5, v47, -v13
	v_mul_f32_e32 v14, 0xbf06c442, v0
	v_mul_f32_e32 v15, 0x3f2c7751, v39
	v_add_f32_e32 v68, v8, v28
	v_add_f32_e32 v69, v9, v22
	;; [unrolled: 1-line block ×3, first 2 shown]
	v_fmamk_f32 v9, v3, 0xbf59a7d5, v14
	v_fmac_f32_e32 v13, 0xbf59a7d5, v47
	v_fma_f32 v10, 0xbf59a7d5, v3, -v14
	v_mul_f32_e32 v14, 0x3f2c7751, v0
	v_mul_f32_e32 v16, 0xbf4c4adb, v39
	v_fma_f32 v12, 0x3f3d2fb0, v47, -v15
	v_add_f32_e32 v9, v9, v11
	v_add_f32_e32 v64, v13, v18
	v_fmamk_f32 v11, v3, 0x3f3d2fb0, v14
	v_fmac_f32_e32 v15, 0x3f3d2fb0, v47
	v_fma_f32 v13, 0x3f3d2fb0, v3, -v14
	v_mul_f32_e32 v17, 0xbf4c4adb, v0
	v_fma_f32 v14, 0xbf1a4643, v47, -v16
	v_add_f32_e32 v1, v1, v20
	v_mul_f32_e32 v20, 0x3f65296c, v39
	v_add_f32_e32 v65, v10, v23
	v_add_f32_e32 v10, v12, v29
	;; [unrolled: 1-line block ×3, first 2 shown]
	v_fmamk_f32 v15, v3, 0xbf1a4643, v17
	v_add_f32_e32 v14, v14, v24
	v_fma_f32 v17, 0xbf1a4643, v3, -v17
	v_mul_f32_e32 v19, 0x3f65296c, v0
	v_mul_f32_e32 v24, 0xbf763a35, v39
	v_fma_f32 v18, 0x3ee437d1, v47, -v20
	v_add_f32_e32 v7, v7, v21
	v_add_f32_e32 v17, v17, v25
	v_fmamk_f32 v21, v3, 0x3ee437d1, v19
	v_fma_f32 v22, 0x3ee437d1, v3, -v19
	v_fma_f32 v23, 0xbe8c1d8e, v47, -v24
	v_mul_f32_e32 v25, 0xbf763a35, v0
	v_mul_f32_e32 v30, 0x3f7ee86f, v39
	;; [unrolled: 1-line block ×3, first 2 shown]
	v_add_f32_e32 v18, v18, v32
	v_mul_lo_u16 v32, v26, 17
	v_mov_b32_e32 v0, 3
	v_add_f32_e32 v19, v21, v36
	v_add_f32_e32 v21, v22, v41
	;; [unrolled: 1-line block ×3, first 2 shown]
	v_fmamk_f32 v23, v3, 0xbe8c1d8e, v25
	v_add_f32_e32 v13, v13, v31
	v_fma_f32 v25, 0xbe8c1d8e, v3, -v25
	v_fma_f32 v29, 0x3dbcf732, v47, -v30
	v_fmamk_f32 v31, v3, 0x3dbcf732, v28
	v_fmac_f32_e32 v30, 0x3dbcf732, v47
	v_fma_f32 v3, 0x3dbcf732, v3, -v28
	v_fmac_f32_e32 v16, 0xbf1a4643, v47
	v_fmac_f32_e32 v20, 0x3ee437d1, v47
	;; [unrolled: 1-line block ×3, first 2 shown]
	v_lshlrev_b32_sdwa v86, v0, v32 dst_sel:DWORD dst_unused:UNUSED_PAD src0_sel:DWORD src1_sel:WORD_0
	v_add_f32_e32 v11, v11, v35
	v_add_f32_e32 v15, v15, v38
	;; [unrolled: 1-line block ×11, first 2 shown]
	ds_write2_b64 v86, v[4:5], v[1:2] offset1:1
	ds_write2_b64 v86, v[6:7], v[8:9] offset0:2 offset1:3
	ds_write2_b64 v86, v[10:11], v[14:15] offset0:4 offset1:5
	;; [unrolled: 1-line block ×7, first 2 shown]
	ds_write_b64 v86, v[66:67] offset:128
	v_add_nc_u32_e32 v1, 0x800, v145
	v_add_nc_u32_e32 v2, 0x1000, v145
	;; [unrolled: 1-line block ×4, first 2 shown]
	s_waitcnt lgkmcnt(0)
	s_barrier
	buffer_gl0_inv
	ds_read2_b64 v[40:43], v1 offset0:33 offset1:152
	v_add_nc_u32_e32 v1, 0x3400, v145
	ds_read2_b64 v[36:39], v145 offset1:119
	ds_read2_b64 v[60:63], v2 offset0:66 offset1:185
	ds_read2_b64 v[56:59], v3 offset0:99 offset1:218
	;; [unrolled: 1-line block ×5, first 2 shown]
                                        ; implicit-def: $vgpr70
                                        ; implicit-def: $vgpr74
                                        ; implicit-def: $vgpr78
                                        ; implicit-def: $vgpr76
	s_and_saveexec_b32 s0, vcc_lo
	s_cbranch_execz .LBB0_3
; %bb.2:
	ds_read_b64 v[64:65], v145 offset:1904
	ds_read_b64 v[68:69], v145 offset:4216
	;; [unrolled: 1-line block ×7, first 2 shown]
.LBB0_3:
	s_or_b32 exec_lo, exec_lo, s0
	v_add_nc_u16 v1, v146, 0xee
	v_mov_b32_e32 v2, 0xf0f1
	v_and_b32_e32 v3, 0xff, v146
	v_add_nc_u16 v12, v146, 0x77
	v_mov_b32_e32 v84, 0x77
	v_mul_u32_u24_sdwa v2, v1, v2 dst_sel:DWORD dst_unused:UNUSED_PAD src0_sel:WORD_0 src1_sel:DWORD
	v_and_b32_e32 v13, 0xff, v12
	v_lshrrev_b32_e32 v147, 20, v2
	v_mul_lo_u16 v2, 0xf1, v3
	v_mul_lo_u16 v13, 0xf1, v13
	;; [unrolled: 1-line block ×3, first 2 shown]
	v_lshrrev_b16 v80, 12, v2
	v_lshrrev_b16 v82, 12, v13
	v_sub_nc_u16 v148, v1, v3
	v_mul_lo_u16 v1, v80, 17
	v_mul_lo_u16 v13, v82, 17
	v_mul_u32_u24_sdwa v80, v80, v84 dst_sel:DWORD dst_unused:UNUSED_PAD src0_sel:WORD_0 src1_sel:DWORD
	v_mul_u32_u24_sdwa v82, v82, v84 dst_sel:DWORD dst_unused:UNUSED_PAD src0_sel:WORD_0 src1_sel:DWORD
	v_mul_lo_u16 v2, v148, 6
	v_sub_nc_u16 v1, v146, v1
	v_sub_nc_u16 v12, v12, v13
	v_lshlrev_b32_sdwa v8, v0, v2 dst_sel:DWORD dst_unused:UNUSED_PAD src0_sel:DWORD src1_sel:WORD_0
	v_and_b32_e32 v81, 0xff, v1
	v_and_b32_e32 v83, 0xff, v12
	s_clause 0x1
	global_load_dwordx4 v[4:7], v8, s[2:3]
	global_load_dwordx4 v[0:3], v8, s[2:3] offset:16
	v_mul_u32_u24_e32 v9, 6, v81
	v_mul_u32_u24_e32 v12, 6, v83
	v_add_lshl_u32 v150, v80, v81, 3
	v_add_lshl_u32 v149, v82, v83, 3
	v_lshlrev_b32_e32 v14, 3, v9
	s_clause 0x3
	global_load_dwordx4 v[8:11], v8, s[2:3] offset:32
	global_load_dwordx4 v[32:35], v14, s[2:3]
	global_load_dwordx4 v[28:31], v14, s[2:3] offset:16
	global_load_dwordx4 v[24:27], v14, s[2:3] offset:32
	v_lshlrev_b32_e32 v12, 3, v12
	s_clause 0x2
	global_load_dwordx4 v[20:23], v12, s[2:3]
	global_load_dwordx4 v[16:19], v12, s[2:3] offset:16
	global_load_dwordx4 v[12:15], v12, s[2:3] offset:32
	s_waitcnt vmcnt(0) lgkmcnt(0)
	s_barrier
	buffer_gl0_inv
	v_mul_f32_e32 v80, v69, v5
	v_mul_f32_e32 v81, v68, v5
	;; [unrolled: 1-line block ×8, first 2 shown]
	v_fma_f32 v68, v68, v4, -v80
	v_fmac_f32_e32 v81, v69, v4
	v_mul_f32_e32 v91, v75, v9
	v_mul_f32_e32 v92, v74, v9
	;; [unrolled: 1-line block ×16, first 2 shown]
	v_fma_f32 v66, v66, v6, -v82
	v_fmac_f32_e32 v83, v67, v6
	v_fma_f32 v67, v70, v0, -v84
	v_fmac_f32_e32 v85, v71, v0
	;; [unrolled: 2-line block ×11, first 2 shown]
	v_mul_f32_e32 v45, v43, v21
	v_mul_f32_e32 v49, v42, v21
	;; [unrolled: 1-line block ×12, first 2 shown]
	v_add_f32_e32 v80, v68, v71
	v_add_f32_e32 v82, v81, v94
	v_sub_f32_e32 v68, v68, v71
	v_sub_f32_e32 v71, v81, v94
	v_add_f32_e32 v81, v66, v70
	v_add_f32_e32 v84, v83, v92
	v_sub_f32_e32 v66, v66, v70
	v_sub_f32_e32 v70, v83, v92
	;; [unrolled: 4-line block ×3, first 2 shown]
	v_fma_f32 v42, v42, v20, -v45
	v_fmac_f32_e32 v49, v43, v20
	v_fma_f32 v43, v62, v22, -v53
	v_fmac_f32_e32 v57, v63, v22
	v_fma_f32 v45, v58, v16, -v60
	v_fma_f32 v53, v54, v18, -v74
	v_fmac_f32_e32 v75, v55, v18
	v_fma_f32 v50, v50, v12, -v76
	v_fmac_f32_e32 v77, v51, v12
	v_fma_f32 v46, v46, v14, -v78
	v_fmac_f32_e32 v79, v47, v14
	v_add_f32_e32 v47, v40, v44
	v_add_f32_e32 v51, v131, v141
	v_sub_f32_e32 v40, v40, v44
	v_sub_f32_e32 v44, v131, v141
	v_add_f32_e32 v54, v41, v48
	v_add_f32_e32 v55, v133, v139
	v_sub_f32_e32 v41, v41, v48
	v_sub_f32_e32 v48, v133, v139
	v_add_f32_e32 v58, v56, v52
	v_sub_f32_e32 v52, v52, v56
	v_sub_f32_e32 v56, v137, v135
	v_fmac_f32_e32 v61, v59, v16
	v_add_f32_e32 v59, v135, v137
	v_add_f32_e32 v60, v81, v80
	;; [unrolled: 1-line block ×3, first 2 shown]
	v_sub_f32_e32 v63, v81, v80
	v_sub_f32_e32 v74, v84, v82
	;; [unrolled: 1-line block ×6, first 2 shown]
	v_add_f32_e32 v82, v67, v66
	v_add_f32_e32 v84, v69, v70
	v_sub_f32_e32 v85, v67, v66
	v_sub_f32_e32 v90, v69, v70
	;; [unrolled: 1-line block ×3, first 2 shown]
	v_add_f32_e32 v91, v54, v47
	v_add_f32_e32 v92, v55, v51
	;; [unrolled: 1-line block ×4, first 2 shown]
	v_sub_f32_e32 v132, v52, v41
	v_sub_f32_e32 v133, v56, v48
	;; [unrolled: 1-line block ×4, first 2 shown]
	v_add_f32_e32 v41, v42, v46
	v_add_f32_e32 v135, v49, v79
	v_sub_f32_e32 v136, v42, v46
	v_add_f32_e32 v42, v43, v50
	v_add_f32_e32 v46, v57, v77
	v_sub_f32_e32 v67, v68, v67
	v_sub_f32_e32 v69, v71, v69
	;; [unrolled: 1-line block ×14, first 2 shown]
	v_add_f32_e32 v57, v45, v53
	v_add_f32_e32 v77, v61, v75
	v_sub_f32_e32 v45, v53, v45
	v_sub_f32_e32 v53, v75, v61
	v_add_f32_e32 v60, v83, v60
	v_add_f32_e32 v61, v89, v62
	v_add_f32_e32 v62, v82, v68
	v_add_f32_e32 v68, v84, v71
	v_mul_f32_e32 v71, 0x3f4a47b2, v76
	v_mul_f32_e32 v75, 0x3f4a47b2, v78
	;; [unrolled: 1-line block ×6, first 2 shown]
	v_add_f32_e32 v58, v58, v91
	v_add_f32_e32 v59, v59, v92
	;; [unrolled: 1-line block ×4, first 2 shown]
	v_mul_f32_e32 v95, 0xbf08b237, v132
	v_mul_f32_e32 v131, 0xbf08b237, v133
	v_mul_f32_e32 v132, 0x3f5ff5aa, v134
	v_mul_f32_e32 v133, 0x3f5ff5aa, v48
	v_add_f32_e32 v137, v42, v41
	v_add_f32_e32 v138, v46, v135
	v_mul_f32_e32 v78, 0x3d64c772, v81
	v_mul_f32_e32 v84, 0x3f5ff5aa, v70
	;; [unrolled: 1-line block ×6, first 2 shown]
	v_sub_f32_e32 v139, v42, v41
	v_sub_f32_e32 v140, v46, v135
	;; [unrolled: 1-line block ×6, first 2 shown]
	v_add_f32_e32 v144, v45, v43
	v_add_f32_e32 v151, v53, v50
	v_sub_f32_e32 v152, v45, v43
	v_sub_f32_e32 v153, v53, v50
	;; [unrolled: 1-line block ×5, first 2 shown]
	v_add_f32_e32 v40, v64, v60
	v_add_f32_e32 v41, v65, v61
	v_fmamk_f32 v64, v80, 0x3d64c772, v71
	v_fmamk_f32 v65, v81, 0x3d64c772, v75
	v_fma_f32 v76, 0x3f3bfb3b, v63, -v76
	v_fma_f32 v63, 0xbf3bfb3b, v63, -v71
	;; [unrolled: 1-line block ×3, first 2 shown]
	v_fmamk_f32 v42, v67, 0x3eae86e6, v79
	v_fmamk_f32 v43, v69, 0x3eae86e6, v82
	v_fma_f32 v66, 0x3f5ff5aa, v66, -v79
	v_fma_f32 v70, 0x3f5ff5aa, v70, -v82
	;; [unrolled: 1-line block ×3, first 2 shown]
	v_add_f32_e32 v46, v36, v58
	v_add_f32_e32 v47, v37, v59
	v_fmamk_f32 v75, v52, 0x3eae86e6, v95
	v_fmamk_f32 v79, v56, 0x3eae86e6, v131
	v_fma_f32 v82, 0xbeae86e6, v52, -v132
	v_fma_f32 v83, 0xbeae86e6, v56, -v133
	v_add_f32_e32 v52, v57, v137
	v_add_f32_e32 v56, v77, v138
	v_sub_f32_e32 v53, v49, v53
	v_fma_f32 v78, 0x3f3bfb3b, v74, -v78
	v_fma_f32 v44, 0xbeae86e6, v69, -v84
	v_fmamk_f32 v54, v54, 0x3d64c772, v90
	v_fmamk_f32 v55, v55, 0x3d64c772, v51
	v_fma_f32 v67, 0x3f3bfb3b, v93, -v91
	v_fma_f32 v69, 0x3f3bfb3b, v94, -v92
	;; [unrolled: 1-line block ×6, first 2 shown]
	v_add_f32_e32 v77, v151, v49
	v_mul_f32_e32 v36, 0x3f4a47b2, v141
	v_mul_f32_e32 v37, 0x3f4a47b2, v135
	;; [unrolled: 1-line block ×7, first 2 shown]
	v_fmamk_f32 v60, v60, 0xbf955555, v40
	v_fmamk_f32 v61, v61, 0xbf955555, v41
	;; [unrolled: 1-line block ×4, first 2 shown]
	v_add_f32_e32 v48, v38, v52
	v_add_f32_e32 v49, v39, v56
	v_mul_f32_e32 v93, 0x3f5ff5aa, v155
	v_add_f32_e32 v57, v144, v136
	v_fmac_f32_e32 v42, 0x3ee1c552, v62
	v_fmac_f32_e32 v43, 0x3ee1c552, v68
	;; [unrolled: 1-line block ×12, first 2 shown]
	v_fmamk_f32 v62, v142, 0x3d64c772, v36
	v_fmamk_f32 v68, v143, 0x3d64c772, v37
	v_fma_f32 v84, 0x3f3bfb3b, v139, -v84
	v_fma_f32 v85, 0x3f3bfb3b, v140, -v90
	v_fma_f32 v89, 0xbf3bfb3b, v139, -v36
	v_fma_f32 v90, 0xbf3bfb3b, v140, -v37
	v_fmamk_f32 v95, v154, 0x3eae86e6, v91
	v_fmamk_f32 v139, v53, 0x3eae86e6, v92
	v_fma_f32 v94, 0xbeae86e6, v53, -v94
	v_add_f32_e32 v37, v65, v61
	v_add_f32_e32 v53, v78, v61
	;; [unrolled: 1-line block ×6, first 2 shown]
	v_fmamk_f32 v65, v52, 0xbf955555, v48
	v_fmamk_f32 v67, v56, 0xbf955555, v49
	v_fma_f32 v91, 0x3f5ff5aa, v155, -v91
	v_fma_f32 v92, 0x3f5ff5aa, v50, -v92
	;; [unrolled: 1-line block ×3, first 2 shown]
	v_add_f32_e32 v36, v64, v60
	v_add_f32_e32 v50, v76, v60
	;; [unrolled: 1-line block ×6, first 2 shown]
	v_fmac_f32_e32 v95, 0x3ee1c552, v57
	v_fmac_f32_e32 v139, 0x3ee1c552, v77
	v_sub_f32_e32 v51, v61, v75
	v_add_f32_e32 v61, v75, v61
	v_add_f32_e32 v74, v62, v65
	;; [unrolled: 1-line block ×3, first 2 shown]
	v_fmac_f32_e32 v91, 0x3ee1c552, v57
	v_fmac_f32_e32 v92, 0x3ee1c552, v77
	;; [unrolled: 1-line block ×4, first 2 shown]
	v_sub_f32_e32 v131, v50, v70
	v_add_f32_e32 v132, v66, v53
	v_add_f32_e32 v133, v70, v50
	v_sub_f32_e32 v134, v53, v66
	v_sub_f32_e32 v135, v38, v44
	v_add_f32_e32 v136, v45, v39
	v_sub_f32_e32 v137, v36, v43
	v_add_f32_e32 v138, v42, v37
	v_add_f32_e32 v50, v79, v60
	;; [unrolled: 1-line block ×7, first 2 shown]
	v_sub_f32_e32 v53, v59, v82
	v_sub_f32_e32 v54, v63, v81
	v_add_f32_e32 v55, v80, v64
	v_add_f32_e32 v56, v81, v63
	v_sub_f32_e32 v57, v64, v80
	v_sub_f32_e32 v58, v58, v83
	v_add_f32_e32 v59, v82, v59
	v_sub_f32_e32 v60, v60, v79
	v_add_f32_e32 v62, v139, v74
	;; [unrolled: 2-line block ×3, first 2 shown]
	v_sub_f32_e32 v65, v71, v93
	v_sub_f32_e32 v66, v68, v92
	v_add_f32_e32 v67, v91, v69
	v_add_f32_e32 v68, v92, v68
	v_sub_f32_e32 v69, v69, v91
	v_sub_f32_e32 v70, v70, v94
	v_add_f32_e32 v71, v93, v71
	v_sub_f32_e32 v74, v74, v139
	v_add_f32_e32 v75, v95, v75
	ds_write2_b64 v150, v[46:47], v[50:51] offset1:17
	ds_write2_b64 v150, v[52:53], v[54:55] offset0:34 offset1:51
	ds_write2_b64 v150, v[56:57], v[58:59] offset0:68 offset1:85
	ds_write_b64 v150, v[60:61] offset:816
	ds_write2_b64 v149, v[48:49], v[62:63] offset1:17
	ds_write2_b64 v149, v[64:65], v[66:67] offset0:34 offset1:51
	ds_write2_b64 v149, v[68:69], v[70:71] offset0:68 offset1:85
	ds_write_b64 v149, v[74:75] offset:816
	s_and_saveexec_b32 s0, vcc_lo
	s_cbranch_execz .LBB0_5
; %bb.4:
	v_mad_u16 v46, 0x77, v147, v148
	v_mov_b32_e32 v47, 3
	v_sub_f32_e32 v37, v37, v42
	v_add_f32_e32 v36, v43, v36
	v_sub_f32_e32 v39, v39, v45
	v_add_f32_e32 v38, v44, v38
	v_lshlrev_b32_sdwa v42, v47, v46 dst_sel:DWORD dst_unused:UNUSED_PAD src0_sel:DWORD src1_sel:WORD_0
	ds_write2_b64 v42, v[40:41], v[36:37] offset1:17
	ds_write2_b64 v42, v[38:39], v[131:132] offset0:34 offset1:51
	ds_write2_b64 v42, v[133:134], v[135:136] offset0:68 offset1:85
	ds_write_b64 v42, v[137:138] offset:816
.LBB0_5:
	s_or_b32 exec_lo, exec_lo, s0
	v_lshlrev_b32_e32 v36, 7, v146
	s_waitcnt lgkmcnt(0)
	s_barrier
	buffer_gl0_inv
	v_add_nc_u32_e32 v92, 0x1400, v145
	s_clause 0x7
	global_load_dwordx4 v[64:67], v36, s[2:3] offset:816
	global_load_dwordx4 v[60:63], v36, s[2:3] offset:832
	;; [unrolled: 1-line block ×8, first 2 shown]
	v_add_nc_u32_e32 v93, 0x400, v145
	v_add_nc_u32_e32 v94, 0xc00, v145
	;; [unrolled: 1-line block ×3, first 2 shown]
	ds_read2_b64 v[68:71], v145 offset1:119
	ds_read2_b64 v[165:168], v92 offset0:74 offset1:193
	v_add_nc_u32_e32 v90, 0x2400, v145
	v_add_nc_u32_e32 v151, 0x2c00, v145
	;; [unrolled: 1-line block ×3, first 2 shown]
	ds_read2_b64 v[152:155], v93 offset0:110 offset1:229
	ds_read2_b64 v[156:159], v94 offset0:92 offset1:211
	ds_read2_b64 v[173:176], v91 offset0:56 offset1:175
	ds_read_b64 v[160:161], v145 offset:15232
	ds_read2_b64 v[177:180], v90 offset0:38 offset1:157
	ds_read2_b64 v[181:184], v151 offset0:20 offset1:139
	;; [unrolled: 1-line block ×3, first 2 shown]
	s_waitcnt vmcnt(7) lgkmcnt(8)
	v_mul_f32_e32 v78, v71, v65
	v_mul_f32_e32 v162, v70, v65
	s_waitcnt lgkmcnt(6)
	v_mul_f32_e32 v79, v153, v67
	s_waitcnt vmcnt(4)
	v_mul_f32_e32 v144, v168, v41
	v_mul_f32_e32 v169, v152, v67
	s_waitcnt lgkmcnt(5)
	v_mul_f32_e32 v163, v156, v63
	v_mul_f32_e32 v95, v159, v57
	s_waitcnt vmcnt(0) lgkmcnt(3)
	v_mul_f32_e32 v196, v161, v39
	v_mul_f32_e32 v140, v160, v39
	s_waitcnt lgkmcnt(0)
	v_mul_f32_e32 v195, v188, v37
	v_mul_f32_e32 v141, v187, v37
	v_fma_f32 v197, v70, v64, -v78
	v_fmac_f32_e32 v162, v71, v64
	v_fma_f32 v78, v167, v40, -v144
	v_fma_f32 v144, v160, v38, -v196
	v_fmac_f32_e32 v140, v161, v38
	v_mul_f32_e32 v82, v155, v61
	v_mul_f32_e32 v171, v154, v61
	;; [unrolled: 1-line block ×8, first 2 shown]
	v_fma_f32 v198, v152, v66, -v79
	v_fmac_f32_e32 v169, v153, v66
	v_fmac_f32_e32 v163, v157, v62
	v_fma_f32 v95, v158, v56, -v95
	v_fma_f32 v152, v187, v36, -v195
	v_fmac_f32_e32 v141, v188, v36
	v_sub_f32_e32 v157, v197, v144
	v_sub_f32_e32 v158, v162, v140
	v_mul_f32_e32 v76, v167, v41
	v_mul_f32_e32 v74, v173, v43
	;; [unrolled: 1-line block ×6, first 2 shown]
	v_fma_f32 v172, v154, v60, -v82
	v_fmac_f32_e32 v171, v155, v60
	v_fma_f32 v164, v156, v62, -v83
	v_fmac_f32_e32 v84, v159, v56
	;; [unrolled: 2-line block ×3, first 2 shown]
	v_fmac_f32_e32 v81, v180, v48
	v_fma_f32 v139, v181, v50, -v192
	v_add_f32_e32 v155, v68, v197
	v_add_f32_e32 v156, v69, v162
	;; [unrolled: 1-line block ×4, first 2 shown]
	v_sub_f32_e32 v159, v198, v152
	v_sub_f32_e32 v160, v169, v141
	v_mul_f32_e32 v180, 0xbf65296c, v157
	v_mul_f32_e32 v181, 0xbf7ee86f, v158
	;; [unrolled: 1-line block ×10, first 2 shown]
	v_fmac_f32_e32 v76, v168, v40
	v_fmac_f32_e32 v74, v174, v42
	v_fma_f32 v71, v175, v52, -v189
	v_fmac_f32_e32 v142, v186, v46
	v_add_f32_e32 v167, v198, v152
	v_add_f32_e32 v168, v169, v141
	;; [unrolled: 1-line block ×4, first 2 shown]
	v_mul_f32_e32 v201, 0xbf4c4adb, v159
	v_mul_f32_e32 v187, 0xbe3c28d5, v160
	v_fmamk_f32 v211, v166, 0x3ee437d1, v180
	v_fma_f32 v212, 0x3dbcf732, v165, -v181
	v_fma_f32 v218, 0xbf59a7d5, v165, -v195
	v_fmac_f32_e32 v195, 0xbf59a7d5, v165
	v_fma_f32 v70, v173, v42, -v170
	v_fmac_f32_e32 v75, v176, v52
	;; [unrolled: 2-line block ×5, first 2 shown]
	v_fma_f32 v153, v185, v46, -v194
	v_sub_f32_e32 v170, v171, v142
	v_mul_f32_e32 v169, 0xbeb8f4ab, v158
	v_mul_f32_e32 v176, 0xbeb8f4ab, v157
	;; [unrolled: 1-line block ×13, first 2 shown]
	v_fmamk_f32 v227, v168, 0xbf1a4643, v201
	v_fma_f32 v228, 0xbf7ba420, v167, -v187
	v_add_f32_e32 v211, v69, v211
	v_add_f32_e32 v212, v68, v212
	;; [unrolled: 1-line block ×6, first 2 shown]
	v_mul_f32_e32 v194, 0xbf2c7751, v160
	v_mul_f32_e32 v199, 0xbf2c7751, v159
	;; [unrolled: 1-line block ×22, first 2 shown]
	v_fma_f32 v170, 0x3f6eb680, v165, -v169
	v_fmamk_f32 v207, v166, 0x3f6eb680, v176
	v_fmac_f32_e32 v169, 0x3f6eb680, v165
	v_fma_f32 v176, 0x3f6eb680, v166, -v176
	v_fma_f32 v208, 0x3f3d2fb0, v165, -v177
	v_fmamk_f32 v209, v166, 0x3f3d2fb0, v178
	v_fmac_f32_e32 v177, 0x3f3d2fb0, v165
	v_fma_f32 v178, 0x3f3d2fb0, v166, -v178
	v_fma_f32 v210, 0x3ee437d1, v165, -v179
	v_fmac_f32_e32 v179, 0x3ee437d1, v165
	v_fma_f32 v180, 0x3ee437d1, v166, -v180
	v_fmamk_f32 v213, v166, 0x3dbcf732, v182
	v_fmac_f32_e32 v181, 0x3dbcf732, v165
	v_fma_f32 v182, 0x3dbcf732, v166, -v182
	v_fma_f32 v214, 0xbe8c1d8e, v165, -v183
	v_fmamk_f32 v215, v166, 0xbe8c1d8e, v184
	v_fmac_f32_e32 v183, 0xbe8c1d8e, v165
	v_fma_f32 v184, 0xbe8c1d8e, v166, -v184
	v_fma_f32 v216, 0xbf1a4643, v165, -v185
	v_fmamk_f32 v217, v166, 0xbf1a4643, v186
	v_fmac_f32_e32 v185, 0xbf1a4643, v165
	v_fma_f32 v186, 0xbf1a4643, v166, -v186
	v_fmamk_f32 v219, v166, 0xbf59a7d5, v196
	v_fma_f32 v196, 0xbf59a7d5, v166, -v196
	v_fma_f32 v220, 0xbf7ba420, v165, -v197
	v_fmamk_f32 v221, v166, 0xbf7ba420, v198
	v_fmac_f32_e32 v197, 0xbf7ba420, v165
	v_fma_f32 v198, 0xbf7ba420, v166, -v198
	v_sub_f32_e32 v172, v172, v153
	v_add_f32_e32 v211, v227, v211
	v_add_f32_e32 v212, v228, v212
	;; [unrolled: 1-line block ×4, first 2 shown]
	v_fma_f32 v222, 0x3f3d2fb0, v167, -v194
	v_fmamk_f32 v223, v168, 0x3f3d2fb0, v199
	v_fmac_f32_e32 v194, 0x3f3d2fb0, v167
	v_fma_f32 v199, 0x3f3d2fb0, v168, -v199
	v_fma_f32 v224, 0x3dbcf732, v167, -v193
	v_fmamk_f32 v225, v168, 0x3dbcf732, v200
	v_fmac_f32_e32 v193, 0x3dbcf732, v167
	v_fma_f32 v200, 0x3dbcf732, v168, -v200
	v_fma_f32 v226, 0xbf1a4643, v167, -v191
	v_fmac_f32_e32 v191, 0xbf1a4643, v167
	v_fma_f32 v201, 0xbf1a4643, v168, -v201
	v_fmamk_f32 v229, v168, 0xbf7ba420, v202
	v_fmac_f32_e32 v187, 0xbf7ba420, v167
	v_fma_f32 v202, 0xbf7ba420, v168, -v202
	v_fma_f32 v230, 0xbf59a7d5, v167, -v192
	v_fmamk_f32 v231, v168, 0xbf59a7d5, v203
	v_fmac_f32_e32 v192, 0xbf59a7d5, v167
	v_fma_f32 v203, 0xbf59a7d5, v168, -v203
	;; [unrolled: 4-line block ×5, first 2 shown]
	v_fma_f32 v167, 0x3ee437d1, v173, -v162
	v_fmac_f32_e32 v162, 0x3ee437d1, v173
	v_fma_f32 v166, 0xbf1a4643, v173, -v161
	v_fmac_f32_e32 v161, 0xbf1a4643, v173
	;; [unrolled: 2-line block ×3, first 2 shown]
	v_add_f32_e32 v238, v68, v170
	v_add_f32_e32 v207, v69, v207
	;; [unrolled: 1-line block ×29, first 2 shown]
	v_fma_f32 v170, 0xbe8c1d8e, v173, -v159
	v_fmac_f32_e32 v159, 0xbe8c1d8e, v173
	v_fma_f32 v169, 0x3f3d2fb0, v173, -v158
	v_fmac_f32_e32 v158, 0x3f3d2fb0, v173
	;; [unrolled: 2-line block ×5, first 2 shown]
	v_add_f32_e32 v171, v171, v142
	v_mul_f32_e32 v173, 0xbf65296c, v172
	v_mul_f32_e32 v174, 0xbf4c4adb, v172
	v_add_f32_e32 v227, v227, v95
	v_add_f32_e32 v228, v228, v84
	;; [unrolled: 1-line block ×3, first 2 shown]
	v_fma_f32 v185, 0x3ee437d1, v171, -v173
	v_fma_f32 v183, 0xbf1a4643, v171, -v174
	v_add_f32_e32 v200, v200, v242
	v_add_f32_e32 v198, v206, v198
	;; [unrolled: 1-line block ×6, first 2 shown]
	v_mul_f32_e32 v175, 0x3e3c28d5, v172
	v_add_f32_e32 v199, v206, v78
	v_add_f32_e32 v200, v227, v76
	v_mul_f32_e32 v254, 0xbf7ee86f, v172
	v_add_f32_e32 v201, v201, v244
	v_fma_f32 v181, 0xbf7ba420, v171, -v175
	v_add_f32_e32 v199, v199, v70
	v_add_f32_e32 v200, v200, v74
	v_add_f32_e32 v218, v234, v218
	v_add_f32_e32 v189, v189, v251
	v_fmamk_f32 v186, v171, 0x3ee437d1, v173
	v_add_f32_e32 v199, v199, v71
	v_add_f32_e32 v200, v200, v75
	v_fma_f32 v173, 0x3dbcf732, v171, -v254
	v_add_f32_e32 v196, v205, v196
	v_add_f32_e32 v220, v236, v220
	;; [unrolled: 1-line block ×15, first 2 shown]
	v_sub_f32_e32 v191, v163, v143
	v_mul_f32_e32 v176, 0x3f763a35, v172
	v_add_f32_e32 v207, v223, v207
	v_add_f32_e32 v69, v69, v143
	;; [unrolled: 1-line block ×7, first 2 shown]
	v_sub_f32_e32 v164, v164, v154
	v_add_f32_e32 v214, v230, v214
	v_add_f32_e32 v230, v192, v247
	v_mul_f32_e32 v194, 0xbe3c28d5, v191
	v_mul_f32_e32 v192, 0x3f763a35, v191
	v_add_f32_e32 v68, v68, v154
	v_add_f32_e32 v69, v69, v142
	v_fmamk_f32 v182, v171, 0xbf7ba420, v175
	v_fmamk_f32 v180, v171, 0xbe8c1d8e, v176
	v_add_f32_e32 v222, v222, v238
	v_add_f32_e32 v224, v193, v241
	;; [unrolled: 1-line block ×5, first 2 shown]
	v_mul_f32_e32 v232, 0x3f763a35, v164
	v_mul_f32_e32 v193, 0x3eb8f4ab, v164
	v_fma_f32 v238, 0xbf7ba420, v187, -v194
	v_fma_f32 v236, 0xbe8c1d8e, v187, -v192
	v_fmac_f32_e32 v192, 0xbe8c1d8e, v187
	v_add_f32_e32 v166, v166, v208
	v_add_f32_e32 v160, v160, v225
	;; [unrolled: 1-line block ×4, first 2 shown]
	v_mul_f32_e32 v177, 0x3f2c7751, v172
	v_fma_f32 v179, 0xbe8c1d8e, v171, -v176
	v_add_f32_e32 v202, v202, v246
	v_add_f32_e32 v215, v231, v215
	v_mul_f32_e32 v231, 0xbe3c28d5, v164
	v_add_f32_e32 v221, v237, v221
	v_fmamk_f32 v237, v163, 0xbe8c1d8e, v232
	v_fma_f32 v232, 0xbe8c1d8e, v163, -v232
	v_add_f32_e32 v165, v165, v210
	v_add_f32_e32 v182, v182, v211
	;; [unrolled: 1-line block ×7, first 2 shown]
	v_mul_f32_e32 v160, 0xbf65296c, v191
	v_fmamk_f32 v166, v163, 0x3f6eb680, v193
	v_mul_f32_e32 v253, 0xbeb8f4ab, v172
	v_fmamk_f32 v184, v171, 0xbf1a4643, v174
	v_fmamk_f32 v178, v171, 0x3f3d2fb0, v177
	v_fma_f32 v177, 0x3f3d2fb0, v171, -v177
	v_add_f32_e32 v203, v203, v248
	v_fmamk_f32 v205, v163, 0xbf7ba420, v231
	v_fma_f32 v231, 0xbf7ba420, v163, -v231
	v_add_f32_e32 v179, v179, v202
	v_add_f32_e32 v169, v169, v214
	;; [unrolled: 1-line block ×6, first 2 shown]
	v_fma_f32 v181, 0x3f6eb680, v163, -v193
	v_fma_f32 v182, 0x3ee437d1, v187, -v160
	v_add_f32_e32 v166, v166, v180
	v_mul_f32_e32 v180, 0xbf65296c, v164
	v_fmamk_f32 v176, v171, 0x3f6eb680, v253
	v_add_f32_e32 v217, v233, v217
	v_add_f32_e32 v233, v190, v249
	;; [unrolled: 1-line block ×8, first 2 shown]
	v_mul_f32_e32 v181, 0xbf06c442, v191
	v_fmamk_f32 v182, v163, 0x3ee437d1, v180
	v_fmac_f32_e32 v160, 0x3ee437d1, v187
	v_fma_f32 v180, 0x3ee437d1, v163, -v180
	v_mul_f32_e32 v183, 0xbf06c442, v164
	v_fma_f32 v175, 0x3f6eb680, v171, -v253
	v_add_f32_e32 v204, v204, v250
	v_add_f32_e32 v178, v178, v215
	;; [unrolled: 1-line block ×5, first 2 shown]
	v_fma_f32 v184, 0xbf59a7d5, v187, -v181
	v_add_f32_e32 v158, v160, v158
	v_add_f32_e32 v160, v180, v177
	v_fmamk_f32 v177, v163, 0xbf59a7d5, v183
	v_fmac_f32_e32 v181, 0xbf59a7d5, v187
	v_add_f32_e32 v168, v168, v216
	v_add_f32_e32 v175, v175, v204
	;; [unrolled: 1-line block ×3, first 2 shown]
	v_mul_f32_e32 v180, 0x3f4c4adb, v191
	v_fma_f32 v182, 0xbf59a7d5, v163, -v183
	v_add_f32_e32 v176, v177, v176
	v_mul_f32_e32 v177, 0x3f4c4adb, v164
	v_add_f32_e32 v157, v181, v157
	v_mul_f32_e32 v181, 0x3f2c7751, v191
	v_mul_f32_e32 v255, 0xbf06c442, v172
	v_fmamk_f32 v174, v171, 0x3dbcf732, v254
	v_add_f32_e32 v219, v235, v219
	v_add_f32_e32 v168, v184, v168
	v_fma_f32 v183, 0xbf1a4643, v187, -v180
	v_add_f32_e32 v175, v182, v175
	v_fmamk_f32 v182, v163, 0xbf1a4643, v177
	v_fmac_f32_e32 v180, 0xbf1a4643, v187
	v_fma_f32 v177, 0xbf1a4643, v163, -v177
	v_fma_f32 v184, 0x3f3d2fb0, v187, -v181
	v_fmamk_f32 v172, v171, 0xbf59a7d5, v255
	v_fma_f32 v171, 0xbf59a7d5, v171, -v255
	v_mul_f32_e32 v195, 0xbf7ee86f, v191
	v_mul_f32_e32 v229, 0xbf7ee86f, v164
	v_add_f32_e32 v188, v188, v197
	v_add_f32_e32 v174, v174, v219
	v_mul_f32_e32 v164, 0x3f2c7751, v164
	v_add_f32_e32 v156, v180, v156
	v_add_f32_e32 v173, v177, v173
	;; [unrolled: 1-line block ×3, first 2 shown]
	v_sub_f32_e32 v180, v84, v85
	v_sub_f32_e32 v184, v95, v139
	v_fma_f32 v234, 0x3dbcf732, v187, -v195
	v_fmamk_f32 v235, v163, 0x3dbcf732, v229
	v_fma_f32 v229, 0x3dbcf732, v163, -v229
	v_add_f32_e32 v167, v167, v222
	v_add_f32_e32 v186, v186, v207
	v_add_f32_e32 v172, v172, v221
	v_add_f32_e32 v155, v155, v188
	v_add_f32_e32 v171, v171, v198
	v_add_f32_e32 v174, v182, v174
	v_fmamk_f32 v182, v163, 0x3f3d2fb0, v164
	v_fmac_f32_e32 v181, 0x3f3d2fb0, v187
	v_add_f32_e32 v95, v95, v139
	v_mul_f32_e32 v139, 0xbf763a35, v180
	v_fma_f32 v163, 0x3f3d2fb0, v163, -v164
	v_add_f32_e32 v84, v84, v85
	v_mul_f32_e32 v85, 0xbf763a35, v184
	v_fmac_f32_e32 v195, 0x3dbcf732, v187
	v_add_f32_e32 v162, v162, v223
	v_add_f32_e32 v167, v234, v167
	;; [unrolled: 1-line block ×4, first 2 shown]
	v_fma_f32 v172, 0xbe8c1d8e, v95, -v139
	v_add_f32_e32 v155, v181, v155
	v_add_f32_e32 v163, v163, v171
	v_fmamk_f32 v171, v84, 0xbe8c1d8e, v85
	v_mul_f32_e32 v181, 0x3f06c442, v180
	v_add_f32_e32 v154, v195, v162
	v_add_f32_e32 v162, v229, v185
	;; [unrolled: 1-line block ×3, first 2 shown]
	v_fmac_f32_e32 v139, 0xbe8c1d8e, v95
	v_fma_f32 v85, 0xbe8c1d8e, v84, -v85
	v_add_f32_e32 v143, v171, v143
	v_fma_f32 v171, 0xbf59a7d5, v95, -v181
	v_mul_f32_e32 v172, 0x3f06c442, v184
	v_mul_f32_e32 v190, 0x3eb8f4ab, v191
	v_fmac_f32_e32 v194, 0xbf7ba420, v187
	v_add_f32_e32 v161, v161, v224
	v_add_f32_e32 v139, v139, v154
	;; [unrolled: 1-line block ×3, first 2 shown]
	v_mul_f32_e32 v154, 0x3f2c7751, v180
	v_add_f32_e32 v142, v171, v142
	v_fmamk_f32 v162, v84, 0xbf59a7d5, v172
	v_fma_f32 v171, 0xbf59a7d5, v84, -v172
	v_mul_f32_e32 v182, 0x3f2c7751, v184
	v_fma_f32 v197, 0x3f6eb680, v187, -v190
	v_add_f32_e32 v170, v170, v212
	v_add_f32_e32 v161, v194, v161
	v_fmac_f32_e32 v181, 0xbf59a7d5, v95
	v_fma_f32 v172, 0x3f3d2fb0, v95, -v154
	v_add_f32_e32 v153, v162, v153
	v_add_f32_e32 v141, v171, v141
	v_fmamk_f32 v162, v84, 0x3f3d2fb0, v182
	v_mul_f32_e32 v171, 0xbf65296c, v180
	v_add_f32_e32 v159, v159, v226
	v_add_f32_e32 v170, v197, v170
	v_fmac_f32_e32 v190, 0x3f6eb680, v187
	v_add_f32_e32 v161, v181, v161
	v_add_f32_e32 v152, v172, v152
	v_fmac_f32_e32 v154, 0x3f3d2fb0, v95
	v_fma_f32 v172, 0x3f3d2fb0, v84, -v182
	v_mul_f32_e32 v181, 0xbf65296c, v184
	v_add_f32_e32 v162, v162, v165
	v_fma_f32 v165, 0x3ee437d1, v95, -v171
	v_add_f32_e32 v159, v190, v159
	v_add_f32_e32 v140, v154, v140
	;; [unrolled: 1-line block ×3, first 2 shown]
	v_fmamk_f32 v154, v84, 0x3ee437d1, v181
	v_mul_f32_e32 v172, 0xbe3c28d5, v180
	v_add_f32_e32 v165, v165, v170
	v_fmac_f32_e32 v171, 0x3ee437d1, v95
	v_fma_f32 v170, 0x3ee437d1, v84, -v181
	v_mul_f32_e32 v181, 0xbe3c28d5, v184
	v_add_f32_e32 v154, v154, v166
	v_fma_f32 v166, 0xbf7ba420, v95, -v172
	v_add_f32_e32 v159, v171, v159
	v_add_f32_e32 v170, v170, v179
	v_mul_f32_e32 v171, 0x3f7ee86f, v180
	v_fma_f32 v179, 0xbf7ba420, v84, -v181
	v_add_f32_e32 v166, v166, v169
	v_fmamk_f32 v169, v84, 0xbf7ba420, v181
	v_fmac_f32_e32 v172, 0xbf7ba420, v95
	v_fma_f32 v181, 0x3dbcf732, v95, -v171
	v_mul_f32_e32 v182, 0x3f7ee86f, v184
	v_add_f32_e32 v160, v179, v160
	v_fmac_f32_e32 v171, 0x3dbcf732, v95
	v_mul_f32_e32 v179, 0xbeb8f4ab, v184
	v_add_f32_e32 v169, v169, v178
	v_add_f32_e32 v158, v172, v158
	v_fmamk_f32 v172, v84, 0x3dbcf732, v182
	v_mul_f32_e32 v178, 0xbeb8f4ab, v180
	v_add_f32_e32 v157, v171, v157
	v_fmamk_f32 v171, v84, 0x3f6eb680, v179
	v_mul_f32_e32 v180, 0xbf4c4adb, v180
	v_add_f32_e32 v168, v181, v168
	v_fma_f32 v181, 0x3dbcf732, v84, -v182
	v_add_f32_e32 v172, v172, v176
	v_fma_f32 v176, 0x3f6eb680, v95, -v178
	v_fmac_f32_e32 v178, 0x3f6eb680, v95
	v_add_f32_e32 v171, v171, v174
	v_fma_f32 v174, 0x3f6eb680, v84, -v179
	v_fma_f32 v179, 0xbf1a4643, v95, -v180
	v_add_f32_e32 v175, v181, v175
	v_mul_f32_e32 v181, 0xbf4c4adb, v184
	v_add_f32_e32 v156, v178, v156
	v_sub_f32_e32 v178, v80, v81
	v_add_f32_e32 v173, v174, v173
	v_add_f32_e32 v174, v179, v177
	v_add_f32_e32 v179, v82, v83
	v_sub_f32_e32 v82, v82, v83
	v_fmamk_f32 v177, v84, 0xbf1a4643, v181
	v_mul_f32_e32 v182, 0xbf4c4adb, v178
	v_fma_f32 v83, 0xbf1a4643, v84, -v181
	v_add_f32_e32 v80, v80, v81
	v_mul_f32_e32 v84, 0xbf4c4adb, v82
	v_fmac_f32_e32 v180, 0xbf1a4643, v95
	v_fma_f32 v81, 0xbf1a4643, v179, -v182
	v_add_f32_e32 v95, v177, v164
	v_add_f32_e32 v83, v83, v163
	v_fmamk_f32 v163, v80, 0xbf1a4643, v84
	v_mul_f32_e32 v164, 0x3f763a35, v178
	v_add_f32_e32 v81, v81, v167
	v_fma_f32 v84, 0xbf1a4643, v80, -v84
	v_mul_f32_e32 v167, 0x3f763a35, v82
	v_add_f32_e32 v143, v163, v143
	v_fma_f32 v163, 0xbe8c1d8e, v179, -v164
	v_mul_f32_e32 v177, 0xbeb8f4ab, v178
	v_add_f32_e32 v84, v84, v85
	v_fmamk_f32 v85, v80, 0xbe8c1d8e, v167
	v_fmac_f32_e32 v164, 0xbe8c1d8e, v179
	v_add_f32_e32 v142, v163, v142
	v_fma_f32 v163, 0xbe8c1d8e, v80, -v167
	v_mul_f32_e32 v167, 0xbeb8f4ab, v82
	v_add_f32_e32 v85, v85, v153
	v_fma_f32 v153, 0x3f6eb680, v179, -v177
	v_add_f32_e32 v155, v180, v155
	v_add_f32_e32 v141, v163, v141
	v_mul_f32_e32 v163, 0xbf06c442, v178
	v_add_f32_e32 v161, v164, v161
	v_add_f32_e32 v152, v153, v152
	v_fmamk_f32 v153, v80, 0x3f6eb680, v167
	v_fmac_f32_e32 v177, 0x3f6eb680, v179
	v_fma_f32 v164, 0x3f6eb680, v80, -v167
	v_fma_f32 v167, 0xbf59a7d5, v179, -v163
	v_mul_f32_e32 v180, 0xbf06c442, v82
	v_add_f32_e32 v153, v153, v162
	v_add_f32_e32 v140, v177, v140
	;; [unrolled: 1-line block ×4, first 2 shown]
	v_fmamk_f32 v164, v80, 0xbf59a7d5, v180
	v_mul_f32_e32 v165, 0x3f7ee86f, v178
	v_fmac_f32_e32 v163, 0xbf59a7d5, v179
	v_fma_f32 v167, 0xbf59a7d5, v80, -v180
	v_mul_f32_e32 v177, 0x3f7ee86f, v82
	v_add_f32_e32 v154, v164, v154
	v_fma_f32 v164, 0x3dbcf732, v179, -v165
	v_add_f32_e32 v159, v163, v159
	v_add_f32_e32 v163, v167, v170
	v_fmamk_f32 v167, v80, 0x3dbcf732, v177
	v_mul_f32_e32 v170, 0xbf2c7751, v178
	v_add_f32_e32 v164, v164, v166
	v_fmac_f32_e32 v165, 0x3dbcf732, v179
	v_fma_f32 v166, 0x3dbcf732, v80, -v177
	v_add_f32_e32 v167, v167, v169
	v_fma_f32 v169, 0x3f3d2fb0, v179, -v170
	v_mul_f32_e32 v177, 0xbf2c7751, v82
	v_add_f32_e32 v183, v183, v201
	v_add_f32_e32 v158, v165, v158
	;; [unrolled: 1-line block ×3, first 2 shown]
	v_mul_f32_e32 v165, 0xbe3c28d5, v178
	v_add_f32_e32 v166, v169, v168
	v_fmamk_f32 v168, v80, 0x3f3d2fb0, v177
	v_fma_f32 v169, 0x3f3d2fb0, v80, -v177
	v_mul_f32_e32 v180, 0xbe3c28d5, v82
	v_add_f32_e32 v176, v176, v183
	v_fmac_f32_e32 v170, 0x3f3d2fb0, v179
	v_fma_f32 v177, 0xbf7ba420, v179, -v165
	v_add_f32_e32 v168, v168, v172
	v_add_f32_e32 v169, v169, v175
	v_fmamk_f32 v172, v80, 0xbf7ba420, v180
	v_mul_f32_e32 v175, 0x3f65296c, v178
	v_add_f32_e32 v157, v170, v157
	v_add_f32_e32 v170, v177, v176
	v_fmac_f32_e32 v165, 0xbf7ba420, v179
	v_fma_f32 v176, 0xbf7ba420, v80, -v180
	v_add_f32_e32 v171, v172, v171
	v_fma_f32 v172, 0x3ee437d1, v179, -v175
	v_mul_f32_e32 v82, 0x3f65296c, v82
	v_add_f32_e32 v156, v165, v156
	v_add_f32_e32 v165, v176, v173
	v_sub_f32_e32 v173, v76, v77
	v_add_f32_e32 v172, v172, v174
	v_add_f32_e32 v174, v78, v79
	v_sub_f32_e32 v78, v78, v79
	v_fmamk_f32 v177, v80, 0x3ee437d1, v82
	v_mul_f32_e32 v79, 0xbf06c442, v173
	v_fmac_f32_e32 v175, 0x3ee437d1, v179
	v_fma_f32 v80, 0x3ee437d1, v80, -v82
	v_add_f32_e32 v76, v76, v77
	v_mul_f32_e32 v77, 0xbf06c442, v78
	v_fmac_f32_e32 v182, 0xbf1a4643, v179
	v_fma_f32 v82, 0xbf59a7d5, v174, -v79
	v_add_f32_e32 v155, v175, v155
	v_add_f32_e32 v80, v80, v83
	v_mul_f32_e32 v83, 0x3f65296c, v173
	v_fmamk_f32 v175, v76, 0xbf59a7d5, v77
	v_add_f32_e32 v139, v182, v139
	v_add_f32_e32 v81, v82, v81
	v_fmac_f32_e32 v79, 0xbf59a7d5, v174
	v_fma_f32 v82, 0x3ee437d1, v174, -v83
	v_add_f32_e32 v143, v175, v143
	v_mul_f32_e32 v175, 0x3f65296c, v78
	v_fma_f32 v77, 0xbf59a7d5, v76, -v77
	v_add_f32_e32 v79, v79, v139
	v_add_f32_e32 v82, v82, v142
	v_fmac_f32_e32 v83, 0x3ee437d1, v174
	v_fmamk_f32 v139, v76, 0x3ee437d1, v175
	v_fma_f32 v142, 0x3ee437d1, v76, -v175
	v_mul_f32_e32 v175, 0xbf7ee86f, v78
	v_add_f32_e32 v77, v77, v84
	v_mul_f32_e32 v84, 0xbf7ee86f, v173
	v_add_f32_e32 v85, v139, v85
	v_add_f32_e32 v83, v83, v161
	v_fmamk_f32 v139, v76, 0x3dbcf732, v175
	v_add_f32_e32 v161, v142, v141
	v_fma_f32 v176, 0x3dbcf732, v174, -v84
	v_fma_f32 v142, 0x3dbcf732, v76, -v175
	v_mul_f32_e32 v141, 0x3f4c4adb, v173
	v_add_f32_e32 v153, v139, v153
	v_mul_f32_e32 v139, 0x3f4c4adb, v78
	v_add_f32_e32 v152, v176, v152
	v_fmac_f32_e32 v84, 0x3dbcf732, v174
	v_add_f32_e32 v176, v142, v144
	v_fma_f32 v175, 0xbf1a4643, v174, -v141
	v_fmamk_f32 v142, v76, 0xbf1a4643, v139
	v_fmac_f32_e32 v141, 0xbf1a4643, v174
	v_add_f32_e32 v84, v84, v140
	v_mul_f32_e32 v140, 0xbeb8f4ab, v173
	v_fma_f32 v139, 0xbf1a4643, v76, -v139
	v_add_f32_e32 v154, v142, v154
	v_mul_f32_e32 v142, 0xbeb8f4ab, v78
	v_add_f32_e32 v159, v141, v159
	v_fma_f32 v144, 0x3f6eb680, v174, -v140
	v_add_f32_e32 v163, v139, v163
	v_mul_f32_e32 v139, 0xbe3c28d5, v173
	v_fmamk_f32 v141, v76, 0x3f6eb680, v142
	v_add_f32_e32 v162, v175, v162
	v_add_f32_e32 v164, v144, v164
	v_fmac_f32_e32 v140, 0x3f6eb680, v174
	v_fma_f32 v142, 0x3f6eb680, v76, -v142
	v_mul_f32_e32 v144, 0xbe3c28d5, v78
	v_fma_f32 v175, 0xbf7ba420, v174, -v139
	v_add_f32_e32 v167, v141, v167
	v_mul_f32_e32 v141, 0x3f2c7751, v173
	v_fmac_f32_e32 v139, 0xbf7ba420, v174
	v_add_f32_e32 v158, v140, v158
	v_add_f32_e32 v160, v142, v160
	v_fmamk_f32 v140, v76, 0xbf7ba420, v144
	v_add_f32_e32 v166, v175, v166
	v_fma_f32 v142, 0xbf7ba420, v76, -v144
	v_fma_f32 v144, 0x3f3d2fb0, v174, -v141
	v_add_f32_e32 v175, v139, v157
	v_mul_f32_e32 v139, 0xbf763a35, v173
	v_add_f32_e32 v95, v177, v95
	v_add_f32_e32 v168, v140, v168
	v_mul_f32_e32 v140, 0x3f2c7751, v78
	v_add_f32_e32 v170, v144, v170
	v_fmac_f32_e32 v141, 0x3f3d2fb0, v174
	v_fma_f32 v144, 0xbe8c1d8e, v174, -v139
	v_mul_f32_e32 v78, 0xbf763a35, v78
	v_sub_f32_e32 v177, v74, v75
	v_fmac_f32_e32 v139, 0xbe8c1d8e, v174
	v_sub_f32_e32 v174, v70, v71
	v_add_f32_e32 v169, v142, v169
	v_fmamk_f32 v142, v76, 0x3f3d2fb0, v140
	v_fma_f32 v140, 0x3f3d2fb0, v76, -v140
	v_add_f32_e32 v178, v70, v71
	v_mul_f32_e32 v70, 0xbe3c28d5, v177
	v_fma_f32 v71, 0xbe8c1d8e, v76, -v78
	v_add_f32_e32 v179, v74, v75
	v_mul_f32_e32 v74, 0xbe3c28d5, v174
	v_add_f32_e32 v165, v140, v165
	v_fmamk_f32 v140, v76, 0xbe8c1d8e, v78
	v_fma_f32 v75, 0xbf7ba420, v178, -v70
	v_add_f32_e32 v181, v71, v80
	v_fmamk_f32 v71, v179, 0xbf7ba420, v74
	v_mul_f32_e32 v76, 0x3eb8f4ab, v177
	v_fma_f32 v74, 0xbf7ba420, v179, -v74
	v_add_f32_e32 v95, v140, v95
	v_add_f32_e32 v180, v139, v155
	;; [unrolled: 1-line block ×4, first 2 shown]
	v_fma_f32 v75, 0x3f6eb680, v178, -v76
	v_mul_f32_e32 v78, 0x3eb8f4ab, v174
	v_add_f32_e32 v71, v74, v77
	v_mul_f32_e32 v77, 0xbf06c442, v177
	v_add_f32_e32 v173, v141, v156
	v_fmac_f32_e32 v70, 0xbf7ba420, v178
	v_add_f32_e32 v141, v75, v82
	v_fmamk_f32 v74, v179, 0x3f6eb680, v78
	v_fma_f32 v75, 0x3f6eb680, v179, -v78
	v_fma_f32 v78, 0xbf59a7d5, v178, -v77
	v_add_f32_e32 v70, v70, v79
	v_fmac_f32_e32 v76, 0x3f6eb680, v178
	v_mul_f32_e32 v79, 0xbf06c442, v174
	v_add_f32_e32 v171, v142, v171
	v_add_f32_e32 v143, v78, v152
	v_mul_f32_e32 v78, 0x3f2c7751, v177
	v_add_f32_e32 v142, v74, v85
	v_add_f32_e32 v74, v76, v83
	v_fmamk_f32 v76, v179, 0xbf59a7d5, v79
	v_fmac_f32_e32 v77, 0xbf59a7d5, v178
	v_fma_f32 v79, 0xbf59a7d5, v179, -v79
	v_mul_f32_e32 v80, 0x3f2c7751, v174
	v_fma_f32 v81, 0x3f3d2fb0, v178, -v78
	v_mul_f32_e32 v82, 0xbf4c4adb, v177
	v_add_f32_e32 v172, v144, v172
	v_add_f32_e32 v144, v76, v153
	;; [unrolled: 1-line block ×4, first 2 shown]
	v_fmamk_f32 v79, v179, 0x3f3d2fb0, v80
	v_add_f32_e32 v152, v81, v162
	v_fma_f32 v80, 0x3f3d2fb0, v179, -v80
	v_fma_f32 v81, 0xbf1a4643, v178, -v82
	v_mul_f32_e32 v83, 0xbf4c4adb, v174
	v_mul_f32_e32 v84, 0x3f65296c, v177
	v_add_f32_e32 v153, v79, v154
	v_add_f32_e32 v79, v80, v163
	;; [unrolled: 1-line block ×3, first 2 shown]
	v_fmamk_f32 v80, v179, 0xbf1a4643, v83
	v_fmac_f32_e32 v82, 0xbf1a4643, v178
	v_fma_f32 v81, 0xbf1a4643, v179, -v83
	v_fma_f32 v83, 0x3ee437d1, v178, -v84
	v_mul_f32_e32 v85, 0x3f65296c, v174
	v_add_f32_e32 v155, v80, v167
	v_add_f32_e32 v80, v82, v158
	;; [unrolled: 1-line block ×4, first 2 shown]
	v_fmamk_f32 v82, v179, 0x3ee437d1, v85
	v_mul_f32_e32 v160, 0xbf763a35, v177
	v_fmac_f32_e32 v84, 0x3ee437d1, v178
	v_fma_f32 v83, 0x3ee437d1, v179, -v85
	v_mul_f32_e32 v85, 0xbf763a35, v174
	v_add_f32_e32 v75, v75, v161
	v_fmac_f32_e32 v78, 0x3f3d2fb0, v178
	v_add_f32_e32 v157, v82, v168
	v_fma_f32 v158, 0xbe8c1d8e, v178, -v160
	v_add_f32_e32 v82, v84, v175
	v_fmamk_f32 v84, v179, 0xbe8c1d8e, v85
	v_fmac_f32_e32 v160, 0xbe8c1d8e, v178
	v_mul_f32_e32 v162, 0x3f7ee86f, v177
	v_mul_f32_e32 v161, 0x3f7ee86f, v174
	v_add_f32_e32 v78, v78, v159
	v_add_f32_e32 v159, v84, v171
	;; [unrolled: 1-line block ×3, first 2 shown]
	v_fma_f32 v160, 0x3dbcf732, v178, -v162
	v_fmamk_f32 v163, v179, 0x3dbcf732, v161
	v_fmac_f32_e32 v162, 0x3dbcf732, v178
	v_fma_f32 v164, 0x3dbcf732, v179, -v161
	v_fma_f32 v85, 0xbe8c1d8e, v179, -v85
	v_add_f32_e32 v158, v158, v170
	v_add_f32_e32 v160, v160, v172
	;; [unrolled: 1-line block ×7, first 2 shown]
	ds_write2_b64 v145, v[68:69], v[139:140] offset1:119
	ds_write2_b64 v93, v[141:142], v[143:144] offset0:110 offset1:229
	ds_write2_b64 v94, v[152:153], v[154:155] offset0:92 offset1:211
	ds_write2_b64 v92, v[156:157], v[158:159] offset0:74 offset1:193
	ds_write2_b64 v91, v[160:161], v[162:163] offset0:56 offset1:175
	ds_write2_b64 v90, v[84:85], v[82:83] offset0:38 offset1:157
	ds_write2_b64 v151, v[80:81], v[78:79] offset0:20 offset1:139
	ds_write2_b64 v89, v[76:77], v[74:75] offset0:130 offset1:249
	ds_write_b64 v145, v[70:71] offset:15232
	v_add_co_u32 v68, s0, 0x3f38, v87
	v_add_co_ci_u32_e64 v69, s0, 0, v88, s0
	s_waitcnt lgkmcnt(0)
	s_barrier
	buffer_gl0_inv
	s_clause 0x1
	global_load_dwordx2 v[72:73], v[72:73], off offset:1848
	global_load_dwordx2 v[74:75], v[68:69], off offset:952
	v_add_co_u32 v70, s0, 0x4800, v87
	v_add_co_ci_u32_e64 v71, s0, 0, v88, s0
	s_clause 0x1
	global_load_dwordx2 v[80:81], v[68:69], off offset:1904
	global_load_dwordx2 v[82:83], v[70:71], off offset:608
	v_add_co_u32 v68, s0, 0x5000, v87
	v_add_co_ci_u32_e64 v69, s0, 0, v88, s0
	;; [unrolled: 5-line block ×6, first 2 shown]
	s_clause 0x2
	global_load_dwordx2 v[160:161], v[70:71], off offset:984
	global_load_dwordx2 v[162:163], v[70:71], off offset:1936
	;; [unrolled: 1-line block ×3, first 2 shown]
	v_add_co_u32 v70, s0, 0x7800, v87
	v_add_co_ci_u32_e64 v71, s0, 0, v88, s0
	s_clause 0x1
	global_load_dwordx2 v[87:88], v[68:69], off offset:1792
	global_load_dwordx2 v[166:167], v[70:71], off offset:696
	ds_read2_b64 v[68:71], v145 offset1:119
	s_waitcnt vmcnt(16) lgkmcnt(0)
	v_mul_f32_e32 v77, v69, v73
	v_mul_f32_e32 v76, v68, v73
	s_waitcnt vmcnt(15)
	v_mul_f32_e32 v78, v71, v75
	v_mul_f32_e32 v73, v70, v75
	v_fma_f32 v75, v68, v72, -v77
	v_fmac_f32_e32 v76, v69, v72
	v_fma_f32 v72, v70, v74, -v78
	v_fmac_f32_e32 v73, v71, v74
	ds_write2_b64 v145, v[75:76], v[72:73] offset1:119
	ds_read2_b64 v[68:71], v93 offset0:110 offset1:229
	ds_read2_b64 v[72:75], v94 offset0:92 offset1:211
	;; [unrolled: 1-line block ×3, first 2 shown]
	s_waitcnt vmcnt(14) lgkmcnt(2)
	v_mul_f32_e32 v95, v69, v81
	v_mul_f32_e32 v169, v68, v81
	s_waitcnt vmcnt(13)
	v_mul_f32_e32 v170, v71, v83
	v_mul_f32_e32 v81, v70, v83
	s_waitcnt vmcnt(12) lgkmcnt(1)
	v_mul_f32_e32 v83, v73, v85
	v_fma_f32 v168, v68, v80, -v95
	v_fmac_f32_e32 v169, v69, v80
	v_fma_f32 v80, v70, v82, -v170
	v_fmac_f32_e32 v81, v71, v82
	ds_read2_b64 v[68:71], v91 offset0:56 offset1:175
	v_mul_f32_e32 v82, v72, v85
	s_waitcnt vmcnt(11)
	v_mul_f32_e32 v95, v75, v140
	v_mul_f32_e32 v85, v74, v140
	ds_write2_b64 v93, v[168:169], v[80:81] offset0:110 offset1:229
	v_fma_f32 v81, v72, v84, -v83
	v_fmac_f32_e32 v82, v73, v84
	v_fma_f32 v84, v74, v139, -v95
	v_fmac_f32_e32 v85, v75, v139
	ds_read2_b64 v[72:75], v90 offset0:38 offset1:157
	s_waitcnt vmcnt(10) lgkmcnt(3)
	v_mul_f32_e32 v80, v77, v142
	v_mul_f32_e32 v140, v76, v142
	s_waitcnt vmcnt(9)
	v_mul_f32_e32 v83, v79, v144
	v_mul_f32_e32 v142, v78, v144
	ds_write2_b64 v94, v[81:82], v[84:85] offset0:92 offset1:211
	v_fma_f32 v139, v76, v141, -v80
	v_fmac_f32_e32 v140, v77, v141
	v_fma_f32 v141, v78, v143, -v83
	v_fmac_f32_e32 v142, v79, v143
	ds_read2_b64 v[76:79], v151 offset0:20 offset1:139
	ds_read2_b64 v[80:83], v89 offset0:130 offset1:249
	s_waitcnt vmcnt(8) lgkmcnt(5)
	v_mul_f32_e32 v84, v69, v153
	v_mul_f32_e32 v85, v68, v153
	ds_write2_b64 v92, v[139:140], v[141:142] offset0:74 offset1:193
	ds_read_b64 v[141:142], v145 offset:15232
	s_waitcnt vmcnt(7)
	v_mul_f32_e32 v95, v71, v155
	v_fma_f32 v84, v68, v152, -v84
	v_fmac_f32_e32 v85, v69, v152
	v_mul_f32_e32 v69, v70, v155
	s_waitcnt vmcnt(6) lgkmcnt(5)
	v_mul_f32_e32 v140, v72, v157
	v_fma_f32 v68, v70, v154, -v95
	v_mul_f32_e32 v70, v73, v157
	s_waitcnt vmcnt(5)
	v_mul_f32_e32 v95, v75, v159
	v_mul_f32_e32 v144, v74, v159
	v_fmac_f32_e32 v69, v71, v154
	v_fmac_f32_e32 v140, v73, v156
	v_fma_f32 v139, v72, v156, -v70
	v_fma_f32 v143, v74, v158, -v95
	v_fmac_f32_e32 v144, v75, v158
	s_waitcnt vmcnt(4) lgkmcnt(3)
	v_mul_f32_e32 v70, v77, v161
	v_mul_f32_e32 v71, v76, v161
	s_waitcnt vmcnt(3)
	v_mul_f32_e32 v72, v79, v163
	v_mul_f32_e32 v73, v78, v163
	s_waitcnt vmcnt(2) lgkmcnt(2)
	v_mul_f32_e32 v74, v81, v165
	v_fma_f32 v70, v76, v160, -v70
	v_fmac_f32_e32 v71, v77, v160
	v_mul_f32_e32 v75, v80, v165
	s_waitcnt vmcnt(1)
	v_mul_f32_e32 v76, v83, v88
	v_mul_f32_e32 v77, v82, v88
	v_fma_f32 v72, v78, v162, -v72
	v_fmac_f32_e32 v73, v79, v162
	s_waitcnt vmcnt(0) lgkmcnt(0)
	v_mul_f32_e32 v78, v142, v167
	v_mul_f32_e32 v79, v141, v167
	v_fma_f32 v74, v80, v164, -v74
	v_fmac_f32_e32 v75, v81, v164
	v_fma_f32 v76, v82, v87, -v76
	v_fmac_f32_e32 v77, v83, v87
	;; [unrolled: 2-line block ×3, first 2 shown]
	ds_write2_b64 v91, v[84:85], v[68:69] offset0:56 offset1:175
	ds_write2_b64 v90, v[139:140], v[143:144] offset0:38 offset1:157
	;; [unrolled: 1-line block ×4, first 2 shown]
	ds_write_b64 v145, v[78:79] offset:15232
	s_waitcnt lgkmcnt(0)
	s_barrier
	buffer_gl0_inv
	ds_read2_b64 v[82:85], v145 offset1:119
	ds_read2_b64 v[139:142], v93 offset0:110 offset1:229
	ds_read2_b64 v[152:155], v94 offset0:92 offset1:211
	;; [unrolled: 1-line block ×3, first 2 shown]
	s_waitcnt lgkmcnt(3)
	v_add_f32_e32 v68, v82, v84
	v_add_f32_e32 v69, v83, v85
	s_waitcnt lgkmcnt(2)
	v_add_f32_e32 v68, v68, v139
	v_add_f32_e32 v69, v69, v140
	;; [unrolled: 1-line block ×4, first 2 shown]
	ds_read2_b64 v[68:71], v91 offset0:56 offset1:175
	s_waitcnt lgkmcnt(2)
	v_add_f32_e32 v76, v76, v152
	v_add_f32_e32 v77, v77, v153
	;; [unrolled: 1-line block ×4, first 2 shown]
	ds_read2_b64 v[76:79], v90 offset0:38 offset1:157
	ds_read2_b64 v[90:93], v151 offset0:20 offset1:139
	s_waitcnt lgkmcnt(3)
	v_add_f32_e32 v80, v80, v72
	v_add_f32_e32 v81, v81, v73
	;; [unrolled: 1-line block ×4, first 2 shown]
	s_waitcnt lgkmcnt(2)
	v_add_f32_e32 v80, v80, v68
	v_add_f32_e32 v81, v81, v69
	;; [unrolled: 1-line block ×4, first 2 shown]
	ds_read2_b64 v[156:159], v89 offset0:130 offset1:249
	ds_read_b64 v[80:81], v145 offset:15232
	s_waitcnt lgkmcnt(0)
	s_barrier
	v_add_f32_e32 v87, v87, v76
	v_add_f32_e32 v88, v88, v77
	buffer_gl0_inv
	v_add_f32_e32 v87, v87, v78
	v_add_f32_e32 v88, v88, v79
	;; [unrolled: 1-line block ×6, first 2 shown]
	v_sub_f32_e32 v89, v85, v81
	v_add_f32_e32 v94, v80, v84
	v_add_f32_e32 v85, v81, v85
	;; [unrolled: 1-line block ×4, first 2 shown]
	v_mul_f32_e32 v95, 0xbeb8f4ab, v89
	v_sub_f32_e32 v84, v84, v80
	v_mul_f32_e32 v162, 0xbf65296c, v89
	v_add_f32_e32 v87, v87, v158
	v_mul_f32_e32 v167, 0xbf7ee86f, v89
	v_mul_f32_e32 v170, 0xbf763a35, v89
	;; [unrolled: 1-line block ×4, first 2 shown]
	v_add_f32_e32 v80, v87, v80
	v_mul_f32_e32 v87, 0xbf2c7751, v89
	v_mul_f32_e32 v89, 0xbe3c28d5, v89
	v_add_f32_e32 v88, v88, v159
	v_mul_f32_e32 v143, 0x3f6eb680, v85
	v_fmamk_f32 v144, v94, 0x3f6eb680, v95
	v_fma_f32 v95, 0x3f6eb680, v94, -v95
	v_fmamk_f32 v160, v94, 0x3f3d2fb0, v87
	v_mul_f32_e32 v161, 0x3f3d2fb0, v85
	v_fma_f32 v87, 0x3f3d2fb0, v94, -v87
	v_mul_f32_e32 v164, 0x3ee437d1, v85
	v_fmamk_f32 v165, v94, 0x3ee437d1, v162
	v_fma_f32 v162, 0x3ee437d1, v94, -v162
	v_mul_f32_e32 v168, 0x3dbcf732, v85
	v_fmamk_f32 v169, v94, 0x3dbcf732, v167
	v_fma_f32 v167, 0x3dbcf732, v94, -v167
	v_fmamk_f32 v172, v94, 0xbe8c1d8e, v170
	v_mul_f32_e32 v173, 0xbe8c1d8e, v85
	v_fma_f32 v170, 0xbe8c1d8e, v94, -v170
	v_mul_f32_e32 v176, 0xbf1a4643, v85
	v_fmamk_f32 v177, v94, 0xbf1a4643, v174
	v_fma_f32 v174, 0xbf1a4643, v94, -v174
	v_mul_f32_e32 v180, 0xbf59a7d5, v85
	v_fmamk_f32 v181, v94, 0xbf59a7d5, v179
	v_fma_f32 v179, 0xbf59a7d5, v94, -v179
	v_fmamk_f32 v183, v94, 0xbf7ba420, v89
	v_mul_f32_e32 v85, 0xbf7ba420, v85
	v_sub_f32_e32 v184, v140, v159
	v_fma_f32 v89, 0xbf7ba420, v94, -v89
	v_add_f32_e32 v94, v159, v140
	v_add_f32_e32 v81, v88, v81
	v_fmamk_f32 v88, v84, 0x3eb8f4ab, v143
	v_fmac_f32_e32 v143, 0xbeb8f4ab, v84
	v_fmamk_f32 v163, v84, 0x3f2c7751, v161
	v_fmac_f32_e32 v161, 0xbf2c7751, v84
	;; [unrolled: 2-line block ×7, first 2 shown]
	v_fmamk_f32 v185, v84, 0x3e3c28d5, v85
	v_add_f32_e32 v140, v158, v139
	v_mul_f32_e32 v159, 0xbf2c7751, v184
	v_fmac_f32_e32 v85, 0xbe3c28d5, v84
	v_sub_f32_e32 v84, v139, v158
	v_mul_f32_e32 v139, 0x3f3d2fb0, v94
	v_add_f32_e32 v144, v82, v144
	v_add_f32_e32 v88, v83, v88
	;; [unrolled: 1-line block ×30, first 2 shown]
	v_fmamk_f32 v185, v140, 0x3f3d2fb0, v159
	v_add_f32_e32 v82, v82, v89
	v_add_f32_e32 v83, v83, v85
	v_fmamk_f32 v85, v84, 0x3f2c7751, v139
	v_mul_f32_e32 v89, 0xbf7ee86f, v184
	v_fmac_f32_e32 v139, 0xbf2c7751, v84
	v_add_f32_e32 v144, v185, v144
	v_fma_f32 v159, 0x3f3d2fb0, v140, -v159
	v_add_f32_e32 v85, v85, v88
	v_fmamk_f32 v88, v140, 0x3dbcf732, v89
	v_mul_f32_e32 v185, 0x3dbcf732, v94
	v_add_f32_e32 v139, v139, v143
	v_mul_f32_e32 v143, 0xbf4c4adb, v184
	v_add_f32_e32 v95, v159, v95
	v_add_f32_e32 v88, v88, v160
	v_fmamk_f32 v159, v84, 0x3f7ee86f, v185
	v_fma_f32 v89, 0x3dbcf732, v140, -v89
	v_fmac_f32_e32 v185, 0xbf7ee86f, v84
	v_fmamk_f32 v160, v140, 0xbf1a4643, v143
	v_mul_f32_e32 v186, 0xbf1a4643, v94
	v_add_f32_e32 v159, v159, v163
	v_add_f32_e32 v87, v89, v87
	;; [unrolled: 1-line block ×4, first 2 shown]
	v_fmamk_f32 v161, v84, 0x3f4c4adb, v186
	v_mul_f32_e32 v163, 0xbe3c28d5, v184
	v_fma_f32 v143, 0xbf1a4643, v140, -v143
	v_fmac_f32_e32 v186, 0xbf4c4adb, v84
	v_mul_f32_e32 v165, 0xbf7ba420, v94
	v_add_f32_e32 v161, v161, v166
	v_fmamk_f32 v166, v140, 0xbf7ba420, v163
	v_add_f32_e32 v143, v143, v162
	v_add_f32_e32 v162, v186, v164
	v_fmamk_f32 v164, v84, 0x3e3c28d5, v165
	v_mul_f32_e32 v185, 0x3f06c442, v184
	v_add_f32_e32 v166, v166, v169
	v_fma_f32 v163, 0xbf7ba420, v140, -v163
	v_fmac_f32_e32 v165, 0xbe3c28d5, v84
	v_add_f32_e32 v164, v164, v171
	v_fmamk_f32 v169, v140, 0xbf59a7d5, v185
	v_mul_f32_e32 v171, 0xbf59a7d5, v94
	v_add_f32_e32 v163, v163, v167
	v_add_f32_e32 v165, v165, v168
	v_mul_f32_e32 v167, 0x3f763a35, v184
	v_add_f32_e32 v168, v169, v172
	v_fmamk_f32 v169, v84, 0xbf06c442, v171
	v_fmac_f32_e32 v171, 0x3f06c442, v84
	v_mul_f32_e32 v186, 0xbe8c1d8e, v94
	v_fma_f32 v172, 0xbf59a7d5, v140, -v185
	v_fmamk_f32 v185, v140, 0xbe8c1d8e, v167
	v_add_f32_e32 v169, v169, v175
	v_add_f32_e32 v171, v171, v173
	v_fmamk_f32 v173, v84, 0xbf763a35, v186
	v_mul_f32_e32 v175, 0x3f65296c, v184
	v_add_f32_e32 v170, v172, v170
	v_add_f32_e32 v172, v185, v177
	v_fma_f32 v167, 0xbe8c1d8e, v140, -v167
	v_mul_f32_e32 v177, 0x3ee437d1, v94
	v_add_f32_e32 v173, v173, v178
	v_fmamk_f32 v178, v140, 0x3ee437d1, v175
	v_mul_f32_e32 v184, 0x3eb8f4ab, v184
	v_fma_f32 v175, 0x3ee437d1, v140, -v175
	v_add_f32_e32 v167, v167, v174
	v_fmamk_f32 v174, v84, 0xbf65296c, v177
	v_add_f32_e32 v178, v178, v181
	v_fmac_f32_e32 v177, 0x3f65296c, v84
	v_fmamk_f32 v181, v140, 0x3f6eb680, v184
	v_add_f32_e32 v175, v175, v179
	v_sub_f32_e32 v179, v142, v157
	v_add_f32_e32 v174, v174, v182
	v_mul_f32_e32 v94, 0x3f6eb680, v94
	v_add_f32_e32 v177, v177, v180
	v_add_f32_e32 v180, v181, v183
	;; [unrolled: 1-line block ×3, first 2 shown]
	v_mul_f32_e32 v183, 0xbf65296c, v179
	v_add_f32_e32 v142, v157, v142
	v_fmac_f32_e32 v186, 0x3f763a35, v84
	v_fmamk_f32 v181, v84, 0xbeb8f4ab, v94
	v_fma_f32 v140, 0x3f6eb680, v140, -v184
	v_fmac_f32_e32 v94, 0x3eb8f4ab, v84
	v_sub_f32_e32 v84, v141, v156
	v_fmamk_f32 v141, v182, 0x3ee437d1, v183
	v_mul_f32_e32 v156, 0x3ee437d1, v142
	v_add_f32_e32 v82, v140, v82
	v_add_f32_e32 v83, v94, v83
	;; [unrolled: 1-line block ×4, first 2 shown]
	v_fmamk_f32 v140, v84, 0x3f65296c, v156
	v_mul_f32_e32 v141, 0xbf4c4adb, v179
	v_fma_f32 v144, 0x3ee437d1, v182, -v183
	v_fmac_f32_e32 v156, 0xbf65296c, v84
	v_mul_f32_e32 v158, 0xbf1a4643, v142
	v_add_f32_e32 v85, v140, v85
	v_fmamk_f32 v140, v182, 0xbf1a4643, v141
	v_add_f32_e32 v95, v144, v95
	v_add_f32_e32 v139, v156, v139
	v_fmamk_f32 v144, v84, 0x3f4c4adb, v158
	v_mul_f32_e32 v156, 0x3e3c28d5, v179
	v_add_f32_e32 v88, v140, v88
	v_fma_f32 v140, 0xbf1a4643, v182, -v141
	v_fmac_f32_e32 v158, 0xbf4c4adb, v84
	v_add_f32_e32 v141, v144, v159
	v_fmamk_f32 v144, v182, 0xbf7ba420, v156
	v_mul_f32_e32 v159, 0xbf7ba420, v142
	v_add_f32_e32 v87, v140, v87
	v_mul_f32_e32 v140, 0x3f763a35, v179
	v_add_f32_e32 v89, v158, v89
	v_add_f32_e32 v144, v144, v160
	v_fmamk_f32 v158, v84, 0xbe3c28d5, v159
	v_fma_f32 v156, 0xbf7ba420, v182, -v156
	v_fmac_f32_e32 v159, 0x3e3c28d5, v84
	v_fmamk_f32 v160, v182, 0xbe8c1d8e, v140
	v_mul_f32_e32 v181, 0xbe8c1d8e, v142
	v_add_f32_e32 v158, v158, v161
	v_add_f32_e32 v143, v156, v143
	;; [unrolled: 1-line block ×4, first 2 shown]
	v_fmamk_f32 v160, v84, 0xbf763a35, v181
	v_mul_f32_e32 v161, 0x3f2c7751, v179
	v_fma_f32 v140, 0xbe8c1d8e, v182, -v140
	v_fmac_f32_e32 v181, 0x3f763a35, v84
	v_mul_f32_e32 v162, 0x3f3d2fb0, v142
	v_add_f32_e32 v160, v160, v164
	v_fmamk_f32 v164, v182, 0x3f3d2fb0, v161
	v_add_f32_e32 v140, v140, v163
	v_add_f32_e32 v163, v181, v165
	v_fmamk_f32 v165, v84, 0xbf2c7751, v162
	v_mul_f32_e32 v166, 0xbeb8f4ab, v179
	v_fma_f32 v161, 0x3f3d2fb0, v182, -v161
	v_add_f32_e32 v164, v164, v168
	v_fmac_f32_e32 v162, 0x3f2c7751, v84
	v_add_f32_e32 v165, v165, v169
	v_fmamk_f32 v168, v182, 0x3f6eb680, v166
	v_mul_f32_e32 v169, 0x3f6eb680, v142
	v_add_f32_e32 v161, v161, v170
	v_mul_f32_e32 v170, 0xbf7ee86f, v179
	v_add_f32_e32 v176, v186, v176
	v_add_f32_e32 v162, v162, v171
	;; [unrolled: 1-line block ×3, first 2 shown]
	v_fmamk_f32 v171, v84, 0x3eb8f4ab, v169
	v_fma_f32 v166, 0x3f6eb680, v182, -v166
	v_fmac_f32_e32 v169, 0xbeb8f4ab, v84
	v_fmamk_f32 v172, v182, 0x3dbcf732, v170
	v_mul_f32_e32 v181, 0x3dbcf732, v142
	v_mul_f32_e32 v142, 0xbf59a7d5, v142
	v_add_f32_e32 v166, v166, v167
	v_add_f32_e32 v167, v169, v176
	;; [unrolled: 1-line block ×3, first 2 shown]
	v_fmamk_f32 v172, v84, 0x3f7ee86f, v181
	v_fma_f32 v170, 0x3dbcf732, v182, -v170
	v_fmac_f32_e32 v181, 0xbf7ee86f, v84
	v_fmamk_f32 v176, v84, 0x3f06c442, v142
	v_add_f32_e32 v171, v171, v173
	v_mul_f32_e32 v173, 0xbf06c442, v179
	v_add_f32_e32 v170, v170, v175
	v_add_f32_e32 v175, v181, v177
	v_sub_f32_e32 v177, v153, v93
	v_add_f32_e32 v176, v176, v157
	v_add_f32_e32 v157, v92, v152
	;; [unrolled: 1-line block ×4, first 2 shown]
	v_mul_f32_e32 v153, 0xbf7ee86f, v177
	v_fmamk_f32 v174, v182, 0xbf59a7d5, v173
	v_fma_f32 v173, 0xbf59a7d5, v182, -v173
	v_fmac_f32_e32 v142, 0xbf06c442, v84
	v_sub_f32_e32 v84, v152, v92
	v_mul_f32_e32 v92, 0x3dbcf732, v93
	v_fmamk_f32 v152, v157, 0x3dbcf732, v153
	v_add_f32_e32 v82, v173, v82
	v_add_f32_e32 v142, v142, v83
	v_mul_f32_e32 v83, 0xbe3c28d5, v177
	v_fmamk_f32 v173, v84, 0x3f7ee86f, v92
	v_add_f32_e32 v152, v152, v94
	v_fma_f32 v94, 0x3dbcf732, v157, -v153
	v_fmac_f32_e32 v92, 0xbf7ee86f, v84
	v_fmamk_f32 v153, v157, 0xbf7ba420, v83
	v_fma_f32 v83, 0xbf7ba420, v157, -v83
	v_add_f32_e32 v85, v173, v85
	v_add_f32_e32 v178, v94, v95
	;; [unrolled: 1-line block ×3, first 2 shown]
	v_mul_f32_e32 v94, 0x3f763a35, v177
	v_mul_f32_e32 v139, 0xbe8c1d8e, v93
	v_mul_f32_e32 v173, 0xbf7ba420, v93
	v_add_f32_e32 v88, v153, v88
	v_add_f32_e32 v87, v83, v87
	v_fmamk_f32 v153, v157, 0xbe8c1d8e, v94
	v_fmamk_f32 v83, v84, 0xbf763a35, v139
	;; [unrolled: 1-line block ×3, first 2 shown]
	v_fmac_f32_e32 v139, 0x3f763a35, v84
	v_fmac_f32_e32 v173, 0xbe3c28d5, v84
	v_add_f32_e32 v144, v153, v144
	v_add_f32_e32 v153, v83, v158
	v_mul_f32_e32 v83, 0x3f6eb680, v93
	v_add_f32_e32 v141, v95, v141
	v_mul_f32_e32 v95, 0x3eb8f4ab, v177
	v_fma_f32 v94, 0xbe8c1d8e, v157, -v94
	v_add_f32_e32 v156, v139, v156
	v_fmamk_f32 v139, v84, 0xbeb8f4ab, v83
	v_add_f32_e32 v89, v173, v89
	v_fmamk_f32 v158, v157, 0x3f6eb680, v95
	v_add_f32_e32 v143, v94, v143
	v_mul_f32_e32 v94, 0xbf65296c, v177
	v_fma_f32 v95, 0x3f6eb680, v157, -v95
	v_fmac_f32_e32 v83, 0x3eb8f4ab, v84
	v_add_f32_e32 v173, v139, v160
	v_mul_f32_e32 v139, 0x3ee437d1, v93
	v_add_f32_e32 v158, v158, v159
	v_fmamk_f32 v159, v157, 0x3ee437d1, v94
	v_add_f32_e32 v179, v95, v140
	v_add_f32_e32 v163, v83, v163
	v_mul_f32_e32 v83, 0xbf06c442, v177
	v_fmamk_f32 v95, v84, 0x3f65296c, v139
	v_add_f32_e32 v174, v174, v180
	v_add_f32_e32 v180, v159, v164
	v_fma_f32 v94, 0x3ee437d1, v157, -v94
	v_fmac_f32_e32 v139, 0xbf65296c, v84
	v_mul_f32_e32 v140, 0xbf59a7d5, v93
	v_fmamk_f32 v159, v157, 0xbf59a7d5, v83
	v_add_f32_e32 v181, v95, v165
	v_mul_f32_e32 v95, 0x3f4c4adb, v177
	v_fma_f32 v83, 0xbf59a7d5, v157, -v83
	v_add_f32_e32 v182, v94, v161
	v_add_f32_e32 v183, v139, v162
	v_fmamk_f32 v94, v84, 0x3f06c442, v140
	v_fmamk_f32 v139, v157, 0xbf1a4643, v95
	v_add_f32_e32 v184, v83, v166
	v_mul_f32_e32 v83, 0x3f2c7751, v177
	v_fmac_f32_e32 v140, 0xbf06c442, v84
	v_add_f32_e32 v171, v94, v171
	v_mul_f32_e32 v94, 0xbf1a4643, v93
	v_add_f32_e32 v177, v139, v169
	v_fma_f32 v95, 0xbf1a4643, v157, -v95
	v_fmamk_f32 v139, v157, 0x3f3d2fb0, v83
	v_add_f32_e32 v167, v140, v167
	v_fmamk_f32 v140, v84, 0xbf4c4adb, v94
	v_fmac_f32_e32 v94, 0x3f4c4adb, v84
	v_mul_f32_e32 v93, 0x3f3d2fb0, v93
	v_add_f32_e32 v185, v95, v170
	v_add_f32_e32 v166, v139, v174
	v_sub_f32_e32 v170, v155, v91
	v_add_f32_e32 v174, v91, v155
	v_add_f32_e32 v165, v94, v175
	v_fmamk_f32 v94, v84, 0xbf2c7751, v93
	v_fma_f32 v95, 0x3f3d2fb0, v157, -v83
	v_add_f32_e32 v157, v90, v154
	v_mul_f32_e32 v91, 0xbf763a35, v170
	v_fmac_f32_e32 v93, 0x3f2c7751, v84
	v_sub_f32_e32 v164, v154, v90
	v_mul_f32_e32 v90, 0xbe8c1d8e, v174
	v_add_f32_e32 v83, v94, v176
	v_fmamk_f32 v84, v157, 0xbe8c1d8e, v91
	v_add_f32_e32 v94, v95, v82
	v_add_f32_e32 v95, v93, v142
	v_fmamk_f32 v82, v164, 0x3f763a35, v90
	v_mul_f32_e32 v93, 0x3f06c442, v170
	v_add_f32_e32 v168, v159, v168
	v_add_f32_e32 v159, v84, v152
	v_fmac_f32_e32 v90, 0xbf763a35, v164
	v_add_f32_e32 v84, v82, v85
	v_fmamk_f32 v82, v157, 0xbf59a7d5, v93
	v_mul_f32_e32 v142, 0xbf59a7d5, v174
	v_add_f32_e32 v172, v140, v172
	v_add_f32_e32 v140, v90, v92
	v_mul_f32_e32 v92, 0x3f3d2fb0, v174
	v_add_f32_e32 v85, v82, v88
	v_fmamk_f32 v82, v164, 0xbf06c442, v142
	v_fmac_f32_e32 v142, 0x3f06c442, v164
	v_fma_f32 v91, 0xbe8c1d8e, v157, -v91
	v_mul_f32_e32 v90, 0x3f2c7751, v170
	v_fma_f32 v88, 0xbf59a7d5, v157, -v93
	v_add_f32_e32 v160, v82, v141
	v_add_f32_e32 v142, v142, v89
	v_fmamk_f32 v82, v164, 0xbf2c7751, v92
	v_mul_f32_e32 v89, 0xbf65296c, v170
	v_add_f32_e32 v139, v91, v178
	v_fmamk_f32 v91, v157, 0x3f3d2fb0, v90
	v_add_f32_e32 v141, v88, v87
	v_add_f32_e32 v88, v82, v153
	v_fmamk_f32 v82, v157, 0x3ee437d1, v89
	v_fma_f32 v90, 0x3f3d2fb0, v157, -v90
	v_add_f32_e32 v87, v91, v144
	v_fmac_f32_e32 v92, 0x3f2c7751, v164
	v_mul_f32_e32 v91, 0x3ee437d1, v174
	v_add_f32_e32 v161, v82, v158
	v_fma_f32 v82, 0x3ee437d1, v157, -v89
	v_add_f32_e32 v143, v90, v143
	v_add_f32_e32 v144, v92, v156
	v_fmamk_f32 v90, v164, 0x3f65296c, v91
	v_mul_f32_e32 v92, 0xbe3c28d5, v170
	v_fmac_f32_e32 v91, 0xbf65296c, v164
	v_mul_f32_e32 v93, 0xbf7ba420, v174
	v_add_f32_e32 v152, v82, v179
	v_mul_f32_e32 v82, 0x3f7ee86f, v170
	v_add_f32_e32 v89, v90, v173
	v_fmamk_f32 v90, v157, 0xbf7ba420, v92
	v_add_f32_e32 v153, v91, v163
	v_fmamk_f32 v91, v164, 0x3e3c28d5, v93
	v_fma_f32 v92, 0xbf7ba420, v157, -v92
	v_fmamk_f32 v156, v157, 0x3dbcf732, v82
	v_mul_f32_e32 v158, 0x3dbcf732, v174
	v_fmac_f32_e32 v93, 0xbe3c28d5, v164
	v_add_f32_e32 v162, v91, v181
	v_add_f32_e32 v154, v92, v182
	;; [unrolled: 1-line block ×3, first 2 shown]
	v_fmamk_f32 v92, v164, 0xbf7ee86f, v158
	v_fma_f32 v82, 0x3dbcf732, v157, -v82
	v_mul_f32_e32 v169, 0x3f6eb680, v174
	v_mul_f32_e32 v168, 0xbf4c4adb, v170
	v_add_f32_e32 v155, v93, v183
	v_mul_f32_e32 v93, 0xbeb8f4ab, v170
	v_fmac_f32_e32 v158, 0x3f7ee86f, v164
	v_add_f32_e32 v92, v92, v171
	v_add_f32_e32 v156, v82, v184
	v_fmamk_f32 v82, v164, 0x3eb8f4ab, v169
	v_fmamk_f32 v170, v157, 0xbf1a4643, v168
	v_sub_f32_e32 v171, v73, v79
	v_add_f32_e32 v158, v158, v167
	v_fmac_f32_e32 v169, 0xbeb8f4ab, v164
	v_add_f32_e32 v82, v82, v172
	v_mul_f32_e32 v167, 0xbf1a4643, v174
	v_add_f32_e32 v166, v170, v166
	v_add_f32_e32 v170, v78, v72
	v_mul_f32_e32 v172, 0xbf4c4adb, v171
	v_add_f32_e32 v73, v79, v73
	v_fmamk_f32 v163, v157, 0x3f6eb680, v93
	v_fma_f32 v93, 0x3f6eb680, v157, -v93
	v_add_f32_e32 v165, v169, v165
	v_fmamk_f32 v169, v164, 0x3f4c4adb, v167
	v_fma_f32 v79, 0xbf1a4643, v157, -v168
	v_fmac_f32_e32 v167, 0xbf4c4adb, v164
	v_sub_f32_e32 v72, v72, v78
	v_fmamk_f32 v78, v170, 0xbf1a4643, v172
	v_mul_f32_e32 v157, 0xbf1a4643, v73
	v_add_f32_e32 v79, v79, v94
	v_add_f32_e32 v94, v167, v95
	v_fma_f32 v164, 0xbf1a4643, v170, -v172
	v_add_f32_e32 v78, v78, v159
	v_fmamk_f32 v95, v72, 0x3f4c4adb, v157
	v_mul_f32_e32 v159, 0x3f763a35, v171
	v_fmac_f32_e32 v157, 0xbf4c4adb, v72
	v_mul_f32_e32 v167, 0xbe8c1d8e, v73
	v_add_f32_e32 v139, v164, v139
	v_add_f32_e32 v84, v95, v84
	v_fmamk_f32 v95, v170, 0xbe8c1d8e, v159
	v_add_f32_e32 v140, v157, v140
	v_fmamk_f32 v157, v72, 0xbf763a35, v167
	v_mul_f32_e32 v164, 0xbeb8f4ab, v171
	v_fmac_f32_e32 v167, 0x3f763a35, v72
	v_add_f32_e32 v85, v95, v85
	v_fma_f32 v95, 0xbe8c1d8e, v170, -v159
	v_add_f32_e32 v157, v157, v160
	v_fmamk_f32 v159, v170, 0x3f6eb680, v164
	v_mul_f32_e32 v160, 0x3f6eb680, v73
	v_fma_f32 v164, 0x3f6eb680, v170, -v164
	v_add_f32_e32 v95, v95, v141
	v_add_f32_e32 v141, v167, v142
	v_mul_f32_e32 v142, 0xbf06c442, v171
	v_add_f32_e32 v87, v159, v87
	v_fmamk_f32 v159, v72, 0x3eb8f4ab, v160
	v_fmac_f32_e32 v160, 0xbeb8f4ab, v72
	v_mul_f32_e32 v168, 0xbf59a7d5, v73
	v_fmamk_f32 v167, v170, 0xbf59a7d5, v142
	v_add_f32_e32 v143, v164, v143
	v_add_f32_e32 v88, v159, v88
	;; [unrolled: 1-line block ×3, first 2 shown]
	v_fmamk_f32 v160, v72, 0x3f06c442, v168
	v_add_f32_e32 v159, v167, v161
	v_mul_f32_e32 v161, 0x3f7ee86f, v171
	v_fma_f32 v142, 0xbf59a7d5, v170, -v142
	v_fmac_f32_e32 v168, 0xbf06c442, v72
	v_mul_f32_e32 v164, 0x3dbcf732, v73
	v_add_f32_e32 v90, v90, v180
	v_add_f32_e32 v89, v160, v89
	v_fmamk_f32 v160, v170, 0x3dbcf732, v161
	v_add_f32_e32 v142, v142, v152
	v_add_f32_e32 v152, v168, v153
	v_fmamk_f32 v153, v72, 0xbf7ee86f, v164
	v_mul_f32_e32 v167, 0xbf2c7751, v171
	v_add_f32_e32 v90, v160, v90
	v_fma_f32 v160, 0x3dbcf732, v170, -v161
	v_fmac_f32_e32 v164, 0x3f7ee86f, v72
	v_add_f32_e32 v153, v153, v162
	v_fmamk_f32 v161, v170, 0x3f3d2fb0, v167
	v_mul_f32_e32 v162, 0x3f3d2fb0, v73
	v_add_f32_e32 v154, v160, v154
	v_mul_f32_e32 v160, 0xbe3c28d5, v171
	v_mul_f32_e32 v168, 0xbf7ba420, v73
	v_add_f32_e32 v91, v161, v91
	v_fmamk_f32 v161, v72, 0x3f2c7751, v162
	v_fmac_f32_e32 v162, 0xbf2c7751, v72
	v_add_f32_e32 v163, v163, v177
	v_add_f32_e32 v93, v93, v185
	;; [unrolled: 1-line block ×3, first 2 shown]
	v_fma_f32 v164, 0x3f3d2fb0, v170, -v167
	v_fmamk_f32 v167, v170, 0xbf7ba420, v160
	v_add_f32_e32 v158, v162, v158
	v_fmamk_f32 v162, v72, 0x3e3c28d5, v168
	v_mul_f32_e32 v73, 0x3ee437d1, v73
	v_fma_f32 v160, 0xbf7ba420, v170, -v160
	v_fmac_f32_e32 v168, 0xbe3c28d5, v72
	v_add_f32_e32 v83, v169, v83
	v_add_f32_e32 v92, v161, v92
	;; [unrolled: 1-line block ×4, first 2 shown]
	v_mul_f32_e32 v163, 0x3f65296c, v171
	v_fmamk_f32 v164, v72, 0xbf65296c, v73
	v_add_f32_e32 v93, v160, v93
	v_add_f32_e32 v160, v168, v165
	v_sub_f32_e32 v165, v75, v77
	v_add_f32_e32 v75, v77, v75
	v_add_f32_e32 v82, v162, v82
	v_fmamk_f32 v162, v170, 0x3ee437d1, v163
	v_add_f32_e32 v83, v164, v83
	v_add_f32_e32 v164, v76, v74
	v_fma_f32 v163, 0x3ee437d1, v170, -v163
	v_fmac_f32_e32 v73, 0x3f65296c, v72
	v_sub_f32_e32 v72, v74, v76
	v_mul_f32_e32 v74, 0xbf59a7d5, v75
	v_mul_f32_e32 v77, 0xbf06c442, v165
	v_add_f32_e32 v79, v163, v79
	v_add_f32_e32 v73, v73, v94
	v_mul_f32_e32 v94, 0x3f65296c, v165
	v_fmamk_f32 v163, v72, 0x3f06c442, v74
	v_fmamk_f32 v76, v164, 0xbf59a7d5, v77
	v_fma_f32 v77, 0xbf59a7d5, v164, -v77
	v_fmac_f32_e32 v74, 0xbf06c442, v72
	v_add_f32_e32 v162, v162, v166
	v_add_f32_e32 v84, v163, v84
	v_mul_f32_e32 v163, 0x3ee437d1, v75
	v_add_f32_e32 v76, v76, v78
	v_fmamk_f32 v78, v164, 0x3ee437d1, v94
	v_add_f32_e32 v77, v77, v139
	v_add_f32_e32 v74, v74, v140
	v_fmamk_f32 v139, v72, 0xbf65296c, v163
	v_fma_f32 v94, 0x3ee437d1, v164, -v94
	v_fmac_f32_e32 v163, 0x3f65296c, v72
	v_mul_f32_e32 v140, 0x3dbcf732, v75
	v_add_f32_e32 v78, v78, v85
	v_mul_f32_e32 v85, 0xbf7ee86f, v165
	v_add_f32_e32 v94, v94, v95
	v_add_f32_e32 v95, v163, v141
	v_fmamk_f32 v141, v72, 0x3f7ee86f, v140
	v_fmac_f32_e32 v140, 0xbf7ee86f, v72
	v_fmamk_f32 v166, v164, 0x3dbcf732, v85
	v_add_f32_e32 v139, v139, v157
	v_fma_f32 v85, 0x3dbcf732, v164, -v85
	v_add_f32_e32 v163, v141, v88
	v_mul_f32_e32 v88, 0xbf1a4643, v75
	v_add_f32_e32 v157, v166, v87
	v_mul_f32_e32 v87, 0x3f4c4adb, v165
	v_add_f32_e32 v140, v140, v144
	v_add_f32_e32 v85, v85, v143
	v_fmamk_f32 v144, v72, 0xbf4c4adb, v88
	v_mul_f32_e32 v143, 0xbeb8f4ab, v165
	v_fmamk_f32 v141, v164, 0xbf1a4643, v87
	v_fma_f32 v87, 0xbf1a4643, v164, -v87
	v_fmac_f32_e32 v88, 0x3f4c4adb, v72
	v_add_f32_e32 v166, v144, v89
	v_mul_f32_e32 v89, 0x3f6eb680, v75
	v_add_f32_e32 v159, v141, v159
	v_fmamk_f32 v141, v164, 0x3f6eb680, v143
	v_add_f32_e32 v167, v87, v142
	v_add_f32_e32 v152, v88, v152
	v_mul_f32_e32 v87, 0xbe3c28d5, v165
	v_fmamk_f32 v88, v72, 0x3eb8f4ab, v89
	v_fmac_f32_e32 v89, 0xbeb8f4ab, v72
	v_add_f32_e32 v168, v141, v90
	v_fma_f32 v90, 0x3f6eb680, v164, -v143
	v_mul_f32_e32 v141, 0xbf7ba420, v75
	v_fmamk_f32 v142, v164, 0xbf7ba420, v87
	v_add_f32_e32 v155, v89, v155
	v_mul_f32_e32 v89, 0x3f2c7751, v165
	v_fma_f32 v87, 0xbf7ba420, v164, -v87
	v_add_f32_e32 v153, v88, v153
	v_add_f32_e32 v154, v90, v154
	v_fmamk_f32 v88, v72, 0x3e3c28d5, v141
	v_fmamk_f32 v90, v164, 0x3f3d2fb0, v89
	v_add_f32_e32 v156, v87, v156
	v_mul_f32_e32 v87, 0xbf763a35, v165
	v_fma_f32 v89, 0x3f3d2fb0, v164, -v89
	v_add_f32_e32 v170, v88, v92
	v_mul_f32_e32 v88, 0x3f3d2fb0, v75
	v_add_f32_e32 v161, v90, v161
	v_fmamk_f32 v90, v164, 0xbe8c1d8e, v87
	v_sub_f32_e32 v171, v69, v71
	v_fma_f32 v87, 0xbe8c1d8e, v164, -v87
	v_add_f32_e32 v164, v71, v69
	v_add_f32_e32 v169, v142, v91
	v_fmamk_f32 v91, v72, 0xbf2c7751, v88
	v_fmac_f32_e32 v88, 0x3f2c7751, v72
	v_mul_f32_e32 v75, 0xbe8c1d8e, v75
	v_add_f32_e32 v172, v70, v68
	v_mul_f32_e32 v69, 0xbe3c28d5, v171
	v_sub_f32_e32 v173, v68, v70
	v_mul_f32_e32 v68, 0xbf7ba420, v164
	v_fmac_f32_e32 v141, 0xbe3c28d5, v72
	v_add_f32_e32 v160, v88, v160
	v_fmamk_f32 v88, v72, 0x3f763a35, v75
	v_fmac_f32_e32 v75, 0xbf763a35, v72
	v_fmamk_f32 v70, v172, 0xbf7ba420, v69
	v_fmamk_f32 v71, v173, 0x3e3c28d5, v68
	v_mul_f32_e32 v72, 0x3eb8f4ab, v171
	v_add_f32_e32 v83, v88, v83
	v_add_f32_e32 v174, v87, v79
	;; [unrolled: 1-line block ×3, first 2 shown]
	v_fma_f32 v69, 0xbf7ba420, v172, -v69
	v_fmac_f32_e32 v68, 0xbe3c28d5, v173
	v_add_f32_e32 v88, v71, v84
	v_fmamk_f32 v70, v172, 0x3f6eb680, v72
	v_mul_f32_e32 v71, 0x3f6eb680, v164
	v_add_f32_e32 v158, v141, v158
	v_add_f32_e32 v165, v89, v93
	;; [unrolled: 1-line block ×5, first 2 shown]
	v_mul_f32_e32 v68, 0xbf06c442, v171
	v_add_f32_e32 v89, v70, v78
	v_fmamk_f32 v69, v173, 0xbeb8f4ab, v71
	v_fma_f32 v70, 0x3f6eb680, v172, -v72
	v_mul_f32_e32 v73, 0xbf59a7d5, v164
	v_add_f32_e32 v162, v90, v162
	v_fmac_f32_e32 v71, 0x3eb8f4ab, v173
	v_fmamk_f32 v72, v172, 0xbf59a7d5, v68
	v_add_f32_e32 v90, v69, v139
	v_add_f32_e32 v143, v70, v94
	v_fmamk_f32 v69, v173, 0x3f06c442, v73
	v_mul_f32_e32 v70, 0x3f2c7751, v171
	v_add_f32_e32 v82, v91, v82
	v_add_f32_e32 v144, v71, v95
	;; [unrolled: 1-line block ×3, first 2 shown]
	v_fma_f32 v68, 0xbf59a7d5, v172, -v68
	v_fmac_f32_e32 v73, 0xbf06c442, v173
	v_mul_f32_e32 v71, 0x3f3d2fb0, v164
	v_add_f32_e32 v92, v69, v163
	v_fmamk_f32 v69, v172, 0x3f3d2fb0, v70
	v_mul_f32_e32 v72, 0xbf4c4adb, v171
	v_add_f32_e32 v139, v68, v85
	v_add_f32_e32 v140, v73, v140
	v_fmamk_f32 v68, v173, 0xbf2c7751, v71
	v_add_f32_e32 v93, v69, v159
	v_fma_f32 v69, 0x3f3d2fb0, v172, -v70
	v_fmac_f32_e32 v71, 0x3f2c7751, v173
	v_fmamk_f32 v70, v172, 0xbf1a4643, v72
	v_mul_f32_e32 v73, 0xbf1a4643, v164
	v_mul_f32_e32 v75, 0x3f65296c, v171
	v_add_f32_e32 v94, v68, v166
	v_add_f32_e32 v68, v69, v167
	;; [unrolled: 1-line block ×4, first 2 shown]
	v_fmamk_f32 v70, v173, 0x3f4c4adb, v73
	v_fma_f32 v71, 0xbf1a4643, v172, -v72
	v_fmac_f32_e32 v73, 0xbf4c4adb, v173
	v_fmamk_f32 v72, v172, 0x3ee437d1, v75
	v_mul_f32_e32 v76, 0x3ee437d1, v164
	v_add_f32_e32 v153, v70, v153
	v_add_f32_e32 v70, v71, v154
	v_add_f32_e32 v71, v73, v155
	v_add_f32_e32 v74, v72, v169
	v_fmamk_f32 v72, v173, 0xbf65296c, v76
	v_fma_f32 v73, 0x3ee437d1, v172, -v75
	v_fmac_f32_e32 v76, 0x3f65296c, v173
	v_mul_f32_e32 v84, 0xbe8c1d8e, v164
	v_mul_f32_e32 v77, 0xbf763a35, v171
	v_add_f32_e32 v75, v72, v170
	v_add_f32_e32 v72, v73, v156
	;; [unrolled: 1-line block ×3, first 2 shown]
	v_fmamk_f32 v76, v173, 0x3f763a35, v84
	v_mul_f32_e32 v85, 0x3f7ee86f, v171
	v_mul_f32_e32 v95, 0x3dbcf732, v164
	v_fmamk_f32 v78, v172, 0xbe8c1d8e, v77
	v_fma_f32 v77, 0xbe8c1d8e, v172, -v77
	v_add_f32_e32 v79, v76, v82
	v_fmac_f32_e32 v84, 0xbf763a35, v173
	v_fmamk_f32 v82, v172, 0x3dbcf732, v85
	v_fmamk_f32 v154, v173, 0xbf7ee86f, v95
	v_fma_f32 v85, 0x3dbcf732, v172, -v85
	v_fmac_f32_e32 v95, 0x3f7ee86f, v173
	v_add_f32_e32 v78, v78, v161
	v_add_f32_e32 v76, v77, v165
	;; [unrolled: 1-line block ×7, first 2 shown]
	ds_write2_b64 v86, v[80:81], v[87:88] offset1:1
	ds_write2_b64 v86, v[89:90], v[91:92] offset0:2 offset1:3
	ds_write2_b64 v86, v[93:94], v[152:153] offset0:4 offset1:5
	;; [unrolled: 1-line block ×7, first 2 shown]
	ds_write_b64 v86, v[141:142] offset:128
	v_add_nc_u32_e32 v72, 0x800, v145
	v_add_nc_u32_e32 v73, 0x1000, v145
	;; [unrolled: 1-line block ×4, first 2 shown]
	s_waitcnt lgkmcnt(0)
	s_barrier
	buffer_gl0_inv
	ds_read2_b64 v[92:95], v72 offset0:33 offset1:152
	v_add_nc_u32_e32 v72, 0x3400, v145
	ds_read2_b64 v[68:71], v145 offset1:119
	ds_read2_b64 v[88:91], v73 offset0:66 offset1:185
	ds_read2_b64 v[84:87], v74 offset0:99 offset1:218
	;; [unrolled: 1-line block ×5, first 2 shown]
	s_and_saveexec_b32 s0, vcc_lo
	s_cbranch_execz .LBB0_7
; %bb.6:
	ds_read_b64 v[139:140], v145 offset:1904
	ds_read_b64 v[143:144], v145 offset:4216
	;; [unrolled: 1-line block ×7, first 2 shown]
.LBB0_7:
	s_or_b32 exec_lo, exec_lo, s0
	s_waitcnt lgkmcnt(6)
	v_mul_f32_e32 v151, v33, v93
	v_mul_f32_e32 v33, v33, v92
	s_waitcnt lgkmcnt(4)
	v_mul_f32_e32 v152, v35, v89
	v_mul_f32_e32 v35, v35, v88
	s_waitcnt lgkmcnt(0)
	v_fmac_f32_e32 v151, v32, v92
	v_fma_f32 v32, v32, v93, -v33
	v_fmac_f32_e32 v152, v34, v88
	v_fma_f32 v33, v34, v89, -v35
	v_mul_f32_e32 v34, v29, v85
	v_mul_f32_e32 v29, v29, v84
	;; [unrolled: 1-line block ×5, first 2 shown]
	v_fmac_f32_e32 v34, v28, v84
	v_fma_f32 v28, v28, v85, -v29
	v_fmac_f32_e32 v35, v30, v80
	v_fma_f32 v29, v30, v81, -v31
	v_mul_f32_e32 v30, v27, v73
	v_mul_f32_e32 v25, v25, v76
	;; [unrolled: 1-line block ×3, first 2 shown]
	v_fmac_f32_e32 v88, v24, v76
	v_mul_f32_e32 v31, v21, v95
	v_fmac_f32_e32 v30, v26, v72
	v_mul_f32_e32 v72, v17, v87
	v_mul_f32_e32 v17, v17, v86
	;; [unrolled: 1-line block ×3, first 2 shown]
	v_fma_f32 v24, v24, v77, -v25
	v_fma_f32 v25, v26, v73, -v27
	v_mul_f32_e32 v73, v19, v83
	v_fmac_f32_e32 v72, v16, v86
	v_fma_f32 v77, v16, v87, -v17
	v_mul_f32_e32 v16, v19, v82
	v_mul_f32_e32 v80, v13, v79
	;; [unrolled: 1-line block ×3, first 2 shown]
	v_fmac_f32_e32 v31, v20, v94
	v_fma_f32 v26, v20, v95, -v21
	v_mul_f32_e32 v27, v23, v91
	v_mul_f32_e32 v20, v23, v90
	v_fmac_f32_e32 v73, v18, v82
	v_mul_f32_e32 v81, v15, v75
	v_mul_f32_e32 v15, v15, v74
	v_fma_f32 v82, v18, v83, -v16
	v_fmac_f32_e32 v80, v12, v78
	v_fma_f32 v78, v12, v79, -v13
	v_add_f32_e32 v12, v151, v30
	v_add_f32_e32 v13, v32, v25
	;; [unrolled: 1-line block ×4, first 2 shown]
	v_fmac_f32_e32 v27, v22, v90
	v_fma_f32 v76, v22, v91, -v20
	v_fmac_f32_e32 v81, v14, v74
	v_fma_f32 v74, v14, v75, -v15
	v_sub_f32_e32 v14, v151, v30
	v_sub_f32_e32 v15, v32, v25
	;; [unrolled: 1-line block ×4, first 2 shown]
	v_add_f32_e32 v20, v34, v35
	v_add_f32_e32 v21, v28, v29
	v_sub_f32_e32 v22, v35, v34
	v_sub_f32_e32 v23, v29, v28
	v_add_f32_e32 v24, v16, v12
	v_add_f32_e32 v25, v17, v13
	v_sub_f32_e32 v28, v16, v12
	v_sub_f32_e32 v29, v17, v13
	;; [unrolled: 1-line block ×6, first 2 shown]
	v_add_f32_e32 v12, v22, v18
	v_add_f32_e32 v13, v23, v19
	v_sub_f32_e32 v33, v22, v18
	v_sub_f32_e32 v34, v23, v19
	;; [unrolled: 1-line block ×3, first 2 shown]
	v_add_f32_e32 v20, v20, v24
	v_add_f32_e32 v21, v21, v25
	v_sub_f32_e32 v19, v19, v15
	v_sub_f32_e32 v22, v14, v22
	;; [unrolled: 1-line block ×3, first 2 shown]
	v_add_f32_e32 v14, v12, v14
	v_add_f32_e32 v15, v13, v15
	;; [unrolled: 1-line block ×4, first 2 shown]
	v_mul_f32_e32 v24, 0x3f4a47b2, v30
	v_mul_f32_e32 v25, 0x3f4a47b2, v32
	;; [unrolled: 1-line block ×8, first 2 shown]
	v_fmamk_f32 v20, v20, 0xbf955555, v12
	v_fmamk_f32 v21, v21, 0xbf955555, v13
	v_fmamk_f32 v16, v16, 0x3d64c772, v24
	v_fmamk_f32 v17, v17, 0x3d64c772, v25
	v_fma_f32 v30, 0x3f3bfb3b, v28, -v30
	v_fma_f32 v32, 0x3f3bfb3b, v29, -v32
	;; [unrolled: 1-line block ×4, first 2 shown]
	v_fmamk_f32 v28, v22, 0xbeae86e6, v33
	v_fmamk_f32 v29, v23, 0xbeae86e6, v34
	v_fma_f32 v33, 0xbf5ff5aa, v18, -v33
	v_fma_f32 v34, 0xbf5ff5aa, v19, -v34
	;; [unrolled: 1-line block ×4, first 2 shown]
	v_add_f32_e32 v68, v16, v20
	v_add_f32_e32 v69, v17, v21
	;; [unrolled: 1-line block ×6, first 2 shown]
	v_fmac_f32_e32 v28, 0xbee1c552, v14
	v_fmac_f32_e32 v29, 0xbee1c552, v15
	v_fmac_f32_e32 v33, 0xbee1c552, v14
	v_fmac_f32_e32 v22, 0xbee1c552, v15
	v_fmac_f32_e32 v35, 0xbee1c552, v14
	v_fmac_f32_e32 v34, 0xbee1c552, v15
	v_add_f32_e32 v14, v29, v68
	v_sub_f32_e32 v15, v69, v28
	v_add_f32_e32 v16, v22, v24
	v_sub_f32_e32 v17, v25, v35
	v_sub_f32_e32 v18, v23, v34
	v_add_f32_e32 v19, v33, v30
	v_add_f32_e32 v20, v34, v23
	v_sub_f32_e32 v21, v30, v33
	v_sub_f32_e32 v22, v24, v22
	v_add_f32_e32 v23, v35, v25
	v_sub_f32_e32 v24, v68, v29
	v_add_f32_e32 v25, v28, v69
	v_add_f32_e32 v28, v31, v81
	;; [unrolled: 1-line block ×3, first 2 shown]
	v_sub_f32_e32 v30, v31, v81
	v_add_f32_e32 v31, v27, v80
	v_add_f32_e32 v32, v76, v78
	v_sub_f32_e32 v27, v27, v80
	v_sub_f32_e32 v33, v76, v78
	v_add_f32_e32 v34, v72, v73
	v_add_f32_e32 v35, v77, v82
	v_sub_f32_e32 v68, v73, v72
	;; [unrolled: 4-line block ×3, first 2 shown]
	v_sub_f32_e32 v74, v31, v28
	v_sub_f32_e32 v75, v32, v29
	;; [unrolled: 1-line block ×6, first 2 shown]
	v_add_f32_e32 v76, v68, v27
	v_add_f32_e32 v77, v69, v33
	v_sub_f32_e32 v78, v68, v27
	v_sub_f32_e32 v79, v69, v33
	v_add_f32_e32 v34, v34, v72
	v_add_f32_e32 v35, v35, v73
	v_sub_f32_e32 v80, v27, v30
	v_sub_f32_e32 v33, v33, v26
	;; [unrolled: 1-line block ×4, first 2 shown]
	v_add_f32_e32 v30, v76, v30
	v_add_f32_e32 v72, v77, v26
	;; [unrolled: 1-line block ×4, first 2 shown]
	v_mul_f32_e32 v28, 0x3f4a47b2, v28
	v_mul_f32_e32 v29, 0x3f4a47b2, v29
	;; [unrolled: 1-line block ×8, first 2 shown]
	v_fmamk_f32 v34, v34, 0xbf955555, v26
	v_fmamk_f32 v35, v35, 0xbf955555, v27
	;; [unrolled: 1-line block ×4, first 2 shown]
	v_fma_f32 v70, 0x3f3bfb3b, v74, -v70
	v_fma_f32 v71, 0x3f3bfb3b, v75, -v71
	;; [unrolled: 1-line block ×4, first 2 shown]
	v_fmamk_f32 v74, v68, 0xbeae86e6, v73
	v_fmamk_f32 v75, v69, 0xbeae86e6, v76
	v_fma_f32 v73, 0xbf5ff5aa, v80, -v73
	v_fma_f32 v76, 0xbf5ff5aa, v33, -v76
	;; [unrolled: 1-line block ×4, first 2 shown]
	v_add_f32_e32 v78, v31, v34
	v_add_f32_e32 v79, v32, v35
	v_fmac_f32_e32 v74, 0xbee1c552, v30
	v_fmac_f32_e32 v75, 0xbee1c552, v72
	v_add_f32_e32 v69, v70, v34
	v_add_f32_e32 v70, v71, v35
	;; [unrolled: 1-line block ×4, first 2 shown]
	v_fmac_f32_e32 v73, 0xbee1c552, v30
	v_fmac_f32_e32 v68, 0xbee1c552, v72
	;; [unrolled: 1-line block ×4, first 2 shown]
	v_add_f32_e32 v28, v75, v78
	v_sub_f32_e32 v29, v79, v74
	v_add_f32_e32 v30, v68, v71
	v_sub_f32_e32 v31, v80, v77
	v_sub_f32_e32 v32, v69, v76
	v_add_f32_e32 v33, v73, v70
	v_add_f32_e32 v34, v76, v69
	v_sub_f32_e32 v35, v70, v73
	v_sub_f32_e32 v68, v71, v68
	v_add_f32_e32 v69, v77, v80
	v_sub_f32_e32 v70, v78, v75
	v_add_f32_e32 v71, v74, v79
	s_barrier
	buffer_gl0_inv
	ds_write2_b64 v150, v[12:13], v[14:15] offset1:17
	ds_write2_b64 v150, v[16:17], v[18:19] offset0:34 offset1:51
	ds_write2_b64 v150, v[20:21], v[22:23] offset0:68 offset1:85
	ds_write_b64 v150, v[24:25] offset:816
	ds_write2_b64 v149, v[26:27], v[28:29] offset1:17
	ds_write2_b64 v149, v[30:31], v[32:33] offset0:34 offset1:51
	ds_write2_b64 v149, v[34:35], v[68:69] offset0:68 offset1:85
	ds_write_b64 v149, v[70:71] offset:816
	s_and_saveexec_b32 s0, vcc_lo
	s_cbranch_execz .LBB0_9
; %bb.8:
	v_mul_f32_e32 v12, v5, v144
	v_mul_f32_e32 v13, v11, v138
	v_mul_f32_e32 v14, v3, v134
	v_mul_f32_e32 v15, v1, v132
	v_mul_f32_e32 v16, v7, v142
	v_mul_f32_e32 v17, v9, v136
	v_mul_f32_e32 v11, v11, v137
	v_mul_f32_e32 v5, v5, v143
	v_mul_f32_e32 v9, v9, v135
	v_mul_f32_e32 v7, v7, v141
	v_fmac_f32_e32 v12, v4, v143
	v_fmac_f32_e32 v13, v10, v137
	;; [unrolled: 1-line block ×6, first 2 shown]
	v_fma_f32 v10, v10, v138, -v11
	v_fma_f32 v4, v4, v144, -v5
	v_mul_f32_e32 v1, v1, v131
	v_mul_f32_e32 v3, v3, v133
	v_fma_f32 v5, v8, v136, -v9
	v_fma_f32 v6, v6, v142, -v7
	v_sub_f32_e32 v19, v14, v15
	v_sub_f32_e32 v7, v16, v17
	v_fma_f32 v0, v0, v132, -v1
	v_fma_f32 v2, v2, v134, -v3
	v_add_f32_e32 v8, v10, v4
	v_add_f32_e32 v9, v5, v6
	v_sub_f32_e32 v18, v12, v13
	v_sub_f32_e32 v1, v19, v7
	v_add_f32_e32 v3, v0, v2
	v_add_f32_e32 v12, v13, v12
	;; [unrolled: 1-line block ×3, first 2 shown]
	v_sub_f32_e32 v11, v18, v19
	v_mul_f32_e32 v21, 0x3f08b237, v1
	v_sub_f32_e32 v1, v8, v3
	v_add_f32_e32 v19, v19, v7
	v_add_f32_e32 v20, v3, v20
	v_add_f32_e32 v13, v17, v16
	v_sub_f32_e32 v3, v3, v9
	v_mul_f32_e32 v23, 0x3f4a47b2, v1
	v_add_f32_e32 v16, v19, v18
	v_add_f32_e32 v1, v140, v20
	;; [unrolled: 1-line block ×4, first 2 shown]
	v_sub_f32_e32 v2, v2, v0
	v_sub_f32_e32 v5, v6, v5
	v_sub_f32_e32 v4, v4, v10
	v_fmamk_f32 v17, v3, 0x3d64c772, v23
	v_fmamk_f32 v15, v20, 0xbf955555, v1
	v_mul_f32_e32 v20, 0x3d64c772, v3
	v_sub_f32_e32 v3, v12, v14
	v_add_f32_e32 v19, v14, v19
	v_sub_f32_e32 v10, v2, v5
	v_sub_f32_e32 v25, v4, v2
	v_add_f32_e32 v2, v2, v5
	v_mul_f32_e32 v6, 0x3f4a47b2, v3
	v_sub_f32_e32 v14, v14, v13
	v_add_f32_e32 v0, v139, v19
	v_sub_f32_e32 v7, v7, v18
	v_sub_f32_e32 v5, v5, v4
	v_add_f32_e32 v2, v2, v4
	v_sub_f32_e32 v4, v9, v8
	v_fmamk_f32 v24, v14, 0x3d64c772, v6
	v_fmamk_f32 v19, v19, 0xbf955555, v0
	v_mul_f32_e32 v10, 0x3f08b237, v10
	v_mul_f32_e32 v26, 0xbf5ff5aa, v7
	;; [unrolled: 1-line block ×4, first 2 shown]
	v_sub_f32_e32 v8, v13, v12
	v_fma_f32 v12, 0xbf3bfb3b, v4, -v23
	v_fma_f32 v4, 0x3f3bfb3b, v4, -v20
	v_fmamk_f32 v22, v11, 0xbeae86e6, v21
	v_add_f32_e32 v18, v24, v19
	v_fmamk_f32 v24, v25, 0xbeae86e6, v10
	v_fma_f32 v11, 0x3eae86e6, v11, -v26
	v_fma_f32 v23, 0x3eae86e6, v25, -v9
	;; [unrolled: 1-line block ×3, first 2 shown]
	v_add_f32_e32 v17, v17, v15
	v_fma_f32 v6, 0xbf3bfb3b, v8, -v6
	v_add_f32_e32 v12, v12, v15
	v_add_f32_e32 v13, v4, v15
	v_fma_f32 v15, 0xbf5ff5aa, v5, -v10
	v_fma_f32 v7, 0x3f3bfb3b, v8, -v14
	v_fmac_f32_e32 v22, 0xbee1c552, v16
	v_fmac_f32_e32 v24, 0xbee1c552, v2
	;; [unrolled: 1-line block ×4, first 2 shown]
	v_mad_u16 v10, 0x77, v147, v148
	v_mov_b32_e32 v14, 3
	v_add_f32_e32 v6, v6, v19
	v_fmac_f32_e32 v23, 0xbee1c552, v2
	v_fmac_f32_e32 v15, 0xbee1c552, v2
	v_add_f32_e32 v2, v7, v19
	v_add_f32_e32 v5, v11, v12
	v_sub_f32_e32 v7, v13, v9
	v_add_f32_e32 v9, v9, v13
	v_sub_f32_e32 v11, v12, v11
	v_sub_f32_e32 v13, v17, v22
	v_add_f32_e32 v12, v24, v18
	v_lshlrev_b32_sdwa v14, v14, v10 dst_sel:DWORD dst_unused:UNUSED_PAD src0_sel:DWORD src1_sel:WORD_0
	v_sub_f32_e32 v8, v2, v15
	v_add_f32_e32 v10, v23, v6
	v_sub_f32_e32 v4, v6, v23
	v_add_f32_e32 v6, v15, v2
	v_add_f32_e32 v3, v22, v17
	v_sub_f32_e32 v2, v18, v24
	ds_write2_b64 v14, v[0:1], v[12:13] offset1:17
	ds_write2_b64 v14, v[10:11], v[8:9] offset0:34 offset1:51
	ds_write2_b64 v14, v[6:7], v[4:5] offset0:68 offset1:85
	ds_write_b64 v14, v[2:3] offset:816
.LBB0_9:
	s_or_b32 exec_lo, exec_lo, s0
	s_waitcnt lgkmcnt(0)
	s_barrier
	buffer_gl0_inv
	ds_read2_b64 v[27:30], v145 offset1:119
	v_add_nc_u32_e32 v8, 0x400, v145
	v_add_nc_u32_e32 v7, 0xc00, v145
	ds_read2_b64 v[9:12], v8 offset0:110 offset1:229
	ds_read2_b64 v[13:16], v7 offset0:92 offset1:211
	v_add_nc_u32_e32 v6, 0x1400, v145
	v_add_nc_u32_e32 v5, 0x1c00, v145
	ds_read_b64 v[0:1], v145 offset:15232
	ds_read2_b64 v[31:34], v6 offset0:74 offset1:193
	ds_read2_b64 v[68:71], v5 offset0:56 offset1:175
	v_add_nc_u32_e32 v4, 0x2400, v145
	v_add_nc_u32_e32 v3, 0x2c00, v145
	;; [unrolled: 1-line block ×3, first 2 shown]
	ds_read2_b64 v[72:75], v4 offset0:38 offset1:157
	ds_read2_b64 v[76:79], v3 offset0:20 offset1:139
	;; [unrolled: 1-line block ×3, first 2 shown]
	s_mov_b32 s0, 0x2e50bc4c
	s_mov_b32 s1, 0x3f40329e
	s_waitcnt lgkmcnt(8)
	v_mul_f32_e32 v35, v65, v30
	v_mul_f32_e32 v17, v65, v29
	s_mul_i32 s2, s9, 0x3b8
	s_mul_hi_u32 s3, s8, 0x3b8
	v_fmac_f32_e32 v35, v64, v29
	v_fma_f32 v29, v64, v30, -v17
	s_waitcnt lgkmcnt(7)
	v_mul_f32_e32 v30, v67, v10
	v_mul_f32_e32 v17, v67, v9
	;; [unrolled: 1-line block ×4, first 2 shown]
	s_waitcnt lgkmcnt(6)
	v_mul_f32_e32 v25, v63, v14
	v_fmac_f32_e32 v30, v66, v9
	v_fma_f32 v61, v66, v10, -v17
	v_fmac_f32_e32 v64, v60, v11
	v_fma_f32 v60, v60, v12, -v18
	v_add_f32_e32 v11, v27, v35
	v_add_f32_e32 v12, v28, v29
	v_mul_f32_e32 v9, v63, v13
	v_mul_f32_e32 v10, v57, v15
	;; [unrolled: 1-line block ×3, first 2 shown]
	v_add_f32_e32 v11, v11, v30
	v_add_f32_e32 v12, v12, v61
	v_fmac_f32_e32 v25, v62, v13
	v_fma_f32 v26, v62, v14, -v9
	v_fma_f32 v22, v56, v16, -v10
	v_add_f32_e32 v16, v11, v64
	v_add_f32_e32 v12, v12, v60
	s_waitcnt lgkmcnt(4)
	v_mul_f32_e32 v17, v59, v32
	v_fmac_f32_e32 v21, v56, v15
	v_mul_f32_e32 v9, v59, v31
	v_add_f32_e32 v16, v16, v25
	v_add_f32_e32 v20, v12, v26
	v_fmac_f32_e32 v17, v58, v31
	v_mul_f32_e32 v13, v41, v34
	v_mul_f32_e32 v10, v41, v33
	v_fma_f32 v18, v58, v32, -v9
	v_add_f32_e32 v24, v16, v21
	v_add_f32_e32 v20, v20, v22
	v_fmac_f32_e32 v13, v40, v33
	v_fma_f32 v14, v40, v34, -v10
	s_waitcnt lgkmcnt(3)
	v_mul_f32_e32 v9, v43, v69
	v_mul_f32_e32 v15, v43, v68
	v_add_f32_e32 v24, v24, v17
	v_add_f32_e32 v20, v20, v18
	v_mul_f32_e32 v10, v53, v71
	v_fmac_f32_e32 v9, v42, v68
	v_fma_f32 v11, v42, v69, -v15
	v_mul_f32_e32 v19, v53, v70
	s_waitcnt lgkmcnt(2)
	v_mul_f32_e32 v31, v49, v74
	v_add_f32_e32 v24, v24, v13
	v_add_f32_e32 v32, v20, v14
	v_fmac_f32_e32 v10, v52, v70
	v_mul_f32_e32 v15, v55, v73
	v_mul_f32_e32 v23, v55, v72
	v_fma_f32 v12, v52, v71, -v19
	v_fma_f32 v20, v48, v75, -v31
	s_waitcnt lgkmcnt(1)
	v_mul_f32_e32 v31, v51, v76
	v_add_f32_e32 v33, v24, v9
	v_add_f32_e32 v32, v32, v11
	v_fmac_f32_e32 v15, v54, v72
	v_fma_f32 v16, v54, v73, -v23
	v_mul_f32_e32 v19, v49, v75
	v_fma_f32 v24, v50, v77, -v31
	v_add_f32_e32 v31, v33, v10
	v_add_f32_e32 v32, v32, v12
	v_mul_f32_e32 v23, v51, v77
	v_fmac_f32_e32 v19, v48, v74
	v_mul_f32_e32 v34, v45, v79
	v_add_f32_e32 v31, v31, v15
	v_add_f32_e32 v32, v32, v16
	v_fmac_f32_e32 v23, v50, v76
	v_mul_f32_e32 v40, v45, v78
	v_fmac_f32_e32 v34, v44, v78
	v_add_f32_e32 v31, v31, v19
	v_add_f32_e32 v32, v32, v20
	s_waitcnt lgkmcnt(0)
	v_mul_f32_e32 v41, v47, v80
	v_fma_f32 v33, v44, v79, -v40
	v_mul_f32_e32 v40, v47, v81
	v_add_f32_e32 v31, v31, v23
	v_add_f32_e32 v32, v32, v24
	v_mul_f32_e32 v42, v37, v83
	v_fma_f32 v41, v46, v81, -v41
	v_fmac_f32_e32 v40, v46, v80
	v_mul_f32_e32 v43, v39, v0
	v_mul_f32_e32 v39, v39, v1
	;; [unrolled: 1-line block ×3, first 2 shown]
	v_add_f32_e32 v31, v31, v34
	v_add_f32_e32 v32, v32, v33
	v_fmac_f32_e32 v42, v36, v82
	v_fma_f32 v1, v38, v1, -v43
	v_fmac_f32_e32 v39, v38, v0
	v_fma_f32 v36, v36, v83, -v37
	v_add_f32_e32 v0, v31, v40
	v_add_f32_e32 v31, v32, v41
	v_sub_f32_e32 v37, v29, v1
	v_add_f32_e32 v29, v29, v1
	v_add_f32_e32 v32, v35, v39
	;; [unrolled: 1-line block ×4, first 2 shown]
	v_mul_f32_e32 v38, 0xbeb8f4ab, v37
	v_sub_f32_e32 v35, v35, v39
	v_mul_f32_e32 v43, 0x3f6eb680, v29
	v_mul_f32_e32 v46, 0x3f3d2fb0, v29
	v_add_f32_e32 v1, v31, v1
	v_mul_f32_e32 v31, 0xbf2c7751, v37
	v_mul_f32_e32 v47, 0xbf65296c, v37
	;; [unrolled: 1-line block ×13, first 2 shown]
	v_sub_f32_e32 v72, v61, v36
	v_add_f32_e32 v36, v61, v36
	v_fmamk_f32 v44, v32, 0x3f6eb680, v38
	v_add_f32_e32 v0, v0, v39
	v_fmamk_f32 v39, v35, 0x3eb8f4ab, v43
	v_fma_f32 v38, 0x3f6eb680, v32, -v38
	v_fmac_f32_e32 v43, 0xbeb8f4ab, v35
	v_fmamk_f32 v45, v32, 0x3f3d2fb0, v31
	v_fmamk_f32 v48, v35, 0x3f2c7751, v46
	v_fma_f32 v31, 0x3f3d2fb0, v32, -v31
	v_fmac_f32_e32 v46, 0xbf2c7751, v35
	v_fmamk_f32 v50, v32, 0x3ee437d1, v47
	v_fmamk_f32 v51, v35, 0x3f65296c, v49
	v_fma_f32 v47, 0x3ee437d1, v32, -v47
	v_fmac_f32_e32 v49, 0xbf65296c, v35
	v_fmamk_f32 v54, v32, 0x3dbcf732, v52
	v_fmamk_f32 v56, v35, 0x3f7ee86f, v53
	v_fma_f32 v52, 0x3dbcf732, v32, -v52
	v_fmac_f32_e32 v53, 0xbf7ee86f, v35
	v_fmamk_f32 v57, v32, 0xbe8c1d8e, v55
	v_fmamk_f32 v62, v35, 0x3f763a35, v58
	v_fma_f32 v55, 0xbe8c1d8e, v32, -v55
	v_fmac_f32_e32 v58, 0xbf763a35, v35
	v_fmamk_f32 v65, v32, 0xbf1a4643, v59
	v_fmamk_f32 v66, v35, 0x3f4c4adb, v63
	v_fma_f32 v59, 0xbf1a4643, v32, -v59
	v_fmac_f32_e32 v63, 0xbf4c4adb, v35
	v_fmamk_f32 v69, v32, 0xbf59a7d5, v67
	v_fmamk_f32 v70, v35, 0x3f06c442, v68
	v_fma_f32 v67, 0xbf59a7d5, v32, -v67
	v_fmac_f32_e32 v68, 0xbf06c442, v35
	v_fmamk_f32 v71, v32, 0xbf7ba420, v37
	v_fmamk_f32 v73, v35, 0x3e3c28d5, v29
	v_fma_f32 v32, 0xbf7ba420, v32, -v37
	v_add_f32_e32 v37, v30, v42
	v_mul_f32_e32 v61, 0xbf2c7751, v72
	v_fmac_f32_e32 v29, 0xbe3c28d5, v35
	v_sub_f32_e32 v30, v30, v42
	v_mul_f32_e32 v35, 0x3f3d2fb0, v36
	v_add_f32_e32 v44, v27, v44
	v_add_f32_e32 v39, v28, v39
	;; [unrolled: 1-line block ×30, first 2 shown]
	v_fmamk_f32 v73, v37, 0x3f3d2fb0, v61
	v_add_f32_e32 v27, v27, v32
	v_add_f32_e32 v28, v28, v29
	v_fmamk_f32 v29, v30, 0x3f2c7751, v35
	v_mul_f32_e32 v32, 0xbf7ee86f, v72
	v_fmac_f32_e32 v35, 0xbf2c7751, v30
	v_add_f32_e32 v44, v73, v44
	v_fma_f32 v61, 0x3f3d2fb0, v37, -v61
	v_add_f32_e32 v29, v29, v39
	v_fmamk_f32 v39, v37, 0x3dbcf732, v32
	v_mul_f32_e32 v73, 0x3dbcf732, v36
	v_add_f32_e32 v35, v35, v43
	v_mul_f32_e32 v43, 0xbf4c4adb, v72
	v_add_f32_e32 v38, v61, v38
	v_add_f32_e32 v39, v39, v45
	v_fmamk_f32 v45, v30, 0x3f7ee86f, v73
	v_fma_f32 v32, 0x3dbcf732, v37, -v32
	v_fmac_f32_e32 v73, 0xbf7ee86f, v30
	v_fmamk_f32 v61, v37, 0xbf1a4643, v43
	v_mul_f32_e32 v74, 0xbf1a4643, v36
	v_add_f32_e32 v45, v45, v48
	v_add_f32_e32 v31, v32, v31
	;; [unrolled: 1-line block ×4, first 2 shown]
	v_fmamk_f32 v48, v30, 0x3f4c4adb, v74
	v_mul_f32_e32 v50, 0xbe3c28d5, v72
	v_fma_f32 v43, 0xbf1a4643, v37, -v43
	v_fmac_f32_e32 v74, 0xbf4c4adb, v30
	v_mul_f32_e32 v61, 0xbf7ba420, v36
	v_add_f32_e32 v48, v48, v51
	v_fmamk_f32 v51, v37, 0xbf7ba420, v50
	v_add_f32_e32 v43, v43, v47
	v_add_f32_e32 v47, v74, v49
	v_fmamk_f32 v49, v30, 0x3e3c28d5, v61
	v_mul_f32_e32 v73, 0x3f06c442, v72
	v_add_f32_e32 v51, v51, v54
	v_fma_f32 v50, 0xbf7ba420, v37, -v50
	v_fmac_f32_e32 v61, 0xbe3c28d5, v30
	v_add_f32_e32 v49, v49, v56
	v_fmamk_f32 v54, v37, 0xbf59a7d5, v73
	v_mul_f32_e32 v56, 0xbf59a7d5, v36
	v_add_f32_e32 v50, v50, v52
	v_add_f32_e32 v52, v61, v53
	v_mul_f32_e32 v53, 0x3f763a35, v72
	v_add_f32_e32 v54, v54, v57
	v_fmamk_f32 v57, v30, 0xbf06c442, v56
	v_fma_f32 v61, 0xbf59a7d5, v37, -v73
	v_mul_f32_e32 v74, 0xbe8c1d8e, v36
	v_fmac_f32_e32 v56, 0x3f06c442, v30
	v_fmamk_f32 v73, v37, 0xbe8c1d8e, v53
	v_add_f32_e32 v57, v57, v62
	v_add_f32_e32 v55, v61, v55
	v_fmamk_f32 v61, v30, 0xbf763a35, v74
	v_mul_f32_e32 v62, 0x3f65296c, v72
	v_add_f32_e32 v56, v56, v58
	v_add_f32_e32 v58, v73, v65
	v_fma_f32 v53, 0xbe8c1d8e, v37, -v53
	v_mul_f32_e32 v65, 0x3ee437d1, v36
	v_add_f32_e32 v61, v61, v66
	v_fmamk_f32 v66, v37, 0x3ee437d1, v62
	v_mul_f32_e32 v72, 0x3eb8f4ab, v72
	v_fma_f32 v62, 0x3ee437d1, v37, -v62
	v_add_f32_e32 v53, v53, v59
	v_fmamk_f32 v59, v30, 0xbf65296c, v65
	v_add_f32_e32 v66, v66, v69
	v_fmac_f32_e32 v65, 0x3f65296c, v30
	v_fmamk_f32 v69, v37, 0x3f6eb680, v72
	v_add_f32_e32 v62, v62, v67
	v_sub_f32_e32 v67, v60, v41
	v_add_f32_e32 v59, v59, v70
	v_mul_f32_e32 v36, 0x3f6eb680, v36
	v_add_f32_e32 v65, v65, v68
	v_add_f32_e32 v68, v69, v71
	;; [unrolled: 1-line block ×3, first 2 shown]
	v_mul_f32_e32 v71, 0xbf65296c, v67
	v_add_f32_e32 v41, v60, v41
	v_fmac_f32_e32 v74, 0x3f763a35, v30
	v_fmamk_f32 v69, v30, 0xbeb8f4ab, v36
	v_fma_f32 v37, 0x3f6eb680, v37, -v72
	v_fmac_f32_e32 v36, 0x3eb8f4ab, v30
	v_sub_f32_e32 v30, v64, v40
	v_fmamk_f32 v40, v70, 0x3ee437d1, v71
	v_mul_f32_e32 v60, 0x3ee437d1, v41
	v_add_f32_e32 v27, v37, v27
	v_add_f32_e32 v28, v36, v28
	v_mul_f32_e32 v64, 0xbf1a4643, v41
	v_add_f32_e32 v36, v40, v44
	v_fmamk_f32 v37, v30, 0x3f65296c, v60
	v_mul_f32_e32 v40, 0xbf4c4adb, v67
	v_fma_f32 v44, 0x3ee437d1, v70, -v71
	v_fmac_f32_e32 v60, 0xbf65296c, v30
	v_add_f32_e32 v42, v69, v42
	v_add_f32_e32 v29, v37, v29
	v_fmamk_f32 v37, v70, 0xbf1a4643, v40
	v_add_f32_e32 v38, v44, v38
	v_add_f32_e32 v35, v60, v35
	v_fmamk_f32 v44, v30, 0x3f4c4adb, v64
	v_mul_f32_e32 v60, 0x3e3c28d5, v67
	v_add_f32_e32 v37, v37, v39
	v_fma_f32 v39, 0xbf1a4643, v70, -v40
	v_fmac_f32_e32 v64, 0xbf4c4adb, v30
	v_add_f32_e32 v40, v44, v45
	v_fmamk_f32 v44, v70, 0xbf7ba420, v60
	v_mul_f32_e32 v45, 0xbf7ba420, v41
	v_add_f32_e32 v31, v39, v31
	v_mul_f32_e32 v39, 0x3f763a35, v67
	v_add_f32_e32 v32, v64, v32
	v_add_f32_e32 v44, v44, v46
	v_fmamk_f32 v46, v30, 0xbe3c28d5, v45
	v_fma_f32 v60, 0xbf7ba420, v70, -v60
	v_fmac_f32_e32 v45, 0x3e3c28d5, v30
	v_fmamk_f32 v64, v70, 0xbe8c1d8e, v39
	v_mul_f32_e32 v69, 0xbe8c1d8e, v41
	v_add_f32_e32 v46, v46, v48
	v_add_f32_e32 v43, v60, v43
	v_add_f32_e32 v45, v45, v47
	v_add_f32_e32 v47, v64, v51
	v_fmamk_f32 v48, v30, 0xbf763a35, v69
	v_mul_f32_e32 v51, 0x3f2c7751, v67
	v_fma_f32 v39, 0xbe8c1d8e, v70, -v39
	v_fmac_f32_e32 v69, 0x3f763a35, v30
	v_mul_f32_e32 v60, 0x3f3d2fb0, v41
	v_add_f32_e32 v48, v48, v49
	v_fmamk_f32 v49, v70, 0x3f3d2fb0, v51
	v_add_f32_e32 v39, v39, v50
	v_add_f32_e32 v50, v69, v52
	v_fmamk_f32 v52, v30, 0xbf2c7751, v60
	v_mul_f32_e32 v64, 0xbeb8f4ab, v67
	v_add_f32_e32 v49, v49, v54
	v_fma_f32 v51, 0x3f3d2fb0, v70, -v51
	v_fmac_f32_e32 v60, 0x3f2c7751, v30
	v_add_f32_e32 v52, v52, v57
	v_fmamk_f32 v54, v70, 0x3f6eb680, v64
	v_mul_f32_e32 v57, 0x3f6eb680, v41
	v_add_f32_e32 v51, v51, v55
	v_add_f32_e32 v55, v60, v56
	v_mul_f32_e32 v56, 0xbf7ee86f, v67
	v_add_f32_e32 v54, v54, v58
	v_fmamk_f32 v58, v30, 0x3eb8f4ab, v57
	v_mul_f32_e32 v69, 0x3dbcf732, v41
	v_fma_f32 v60, 0x3f6eb680, v70, -v64
	v_fmamk_f32 v64, v70, 0x3dbcf732, v56
	v_mul_f32_e32 v41, 0xbf59a7d5, v41
	v_add_f32_e32 v58, v58, v61
	v_fmamk_f32 v61, v30, 0x3f7ee86f, v69
	v_fma_f32 v56, 0x3dbcf732, v70, -v56
	v_fmac_f32_e32 v69, 0xbf7ee86f, v30
	v_add_f32_e32 v63, v74, v63
	v_fmac_f32_e32 v57, 0xbeb8f4ab, v30
	v_add_f32_e32 v53, v60, v53
	v_add_f32_e32 v60, v64, v66
	v_fmamk_f32 v64, v30, 0x3f06c442, v41
	v_add_f32_e32 v56, v56, v62
	v_add_f32_e32 v62, v69, v65
	v_sub_f32_e32 v65, v26, v33
	v_add_f32_e32 v57, v57, v63
	v_mul_f32_e32 v63, 0xbf06c442, v67
	v_add_f32_e32 v42, v64, v42
	v_add_f32_e32 v64, v25, v34
	v_add_f32_e32 v26, v26, v33
	v_mul_f32_e32 v33, 0xbf7ee86f, v65
	v_fmac_f32_e32 v41, 0xbf06c442, v30
	v_add_f32_e32 v59, v61, v59
	v_fmamk_f32 v61, v70, 0xbf59a7d5, v63
	v_fma_f32 v63, 0xbf59a7d5, v70, -v63
	v_sub_f32_e32 v25, v25, v34
	v_mul_f32_e32 v30, 0x3dbcf732, v26
	v_fmamk_f32 v34, v64, 0x3dbcf732, v33
	v_add_f32_e32 v28, v41, v28
	v_mul_f32_e32 v41, 0xbe3c28d5, v65
	v_add_f32_e32 v27, v63, v27
	v_fmamk_f32 v63, v25, 0x3f7ee86f, v30
	v_add_f32_e32 v34, v34, v36
	v_fmac_f32_e32 v30, 0xbf7ee86f, v25
	v_fmamk_f32 v36, v64, 0xbf7ba420, v41
	v_fma_f32 v33, 0x3dbcf732, v64, -v33
	v_add_f32_e32 v29, v63, v29
	v_mul_f32_e32 v63, 0xbf7ba420, v26
	v_add_f32_e32 v30, v30, v35
	v_add_f32_e32 v35, v36, v37
	v_mul_f32_e32 v36, 0x3f763a35, v65
	v_add_f32_e32 v33, v33, v38
	v_fmamk_f32 v37, v25, 0x3e3c28d5, v63
	v_fma_f32 v38, 0xbf7ba420, v64, -v41
	v_mul_f32_e32 v41, 0xbe8c1d8e, v26
	v_fmamk_f32 v66, v64, 0xbe8c1d8e, v36
	v_fmac_f32_e32 v63, 0xbe3c28d5, v25
	v_add_f32_e32 v37, v37, v40
	v_add_f32_e32 v31, v38, v31
	v_fmamk_f32 v38, v25, 0xbf763a35, v41
	v_add_f32_e32 v40, v66, v44
	v_mul_f32_e32 v44, 0x3eb8f4ab, v65
	v_fma_f32 v36, 0xbe8c1d8e, v64, -v36
	v_add_f32_e32 v32, v63, v32
	v_fmac_f32_e32 v41, 0x3f763a35, v25
	v_add_f32_e32 v38, v38, v46
	v_mul_f32_e32 v46, 0x3f6eb680, v26
	v_fmamk_f32 v63, v64, 0x3f6eb680, v44
	v_add_f32_e32 v36, v36, v43
	v_mul_f32_e32 v43, 0xbf65296c, v65
	v_add_f32_e32 v41, v41, v45
	v_fmamk_f32 v45, v25, 0xbeb8f4ab, v46
	v_add_f32_e32 v47, v63, v47
	v_fma_f32 v44, 0x3f6eb680, v64, -v44
	v_fmac_f32_e32 v46, 0x3eb8f4ab, v25
	v_fmamk_f32 v63, v64, 0x3ee437d1, v43
	v_add_f32_e32 v45, v45, v48
	v_mul_f32_e32 v48, 0x3ee437d1, v26
	v_add_f32_e32 v39, v44, v39
	v_add_f32_e32 v44, v46, v50
	;; [unrolled: 1-line block ×3, first 2 shown]
	v_mul_f32_e32 v49, 0xbf06c442, v65
	v_fmamk_f32 v50, v25, 0x3f65296c, v48
	v_fma_f32 v43, 0x3ee437d1, v64, -v43
	v_mul_f32_e32 v63, 0xbf59a7d5, v26
	v_fmac_f32_e32 v48, 0xbf65296c, v25
	v_fmamk_f32 v66, v64, 0xbf59a7d5, v49
	v_add_f32_e32 v50, v50, v52
	v_add_f32_e32 v43, v43, v51
	v_fmamk_f32 v51, v25, 0x3f06c442, v63
	v_fma_f32 v49, 0xbf59a7d5, v64, -v49
	v_add_f32_e32 v52, v66, v54
	v_mul_f32_e32 v54, 0x3f4c4adb, v65
	v_fmac_f32_e32 v63, 0xbf06c442, v25
	v_add_f32_e32 v51, v51, v58
	v_add_f32_e32 v49, v49, v53
	;; [unrolled: 1-line block ×3, first 2 shown]
	v_fmamk_f32 v58, v64, 0xbf1a4643, v54
	v_add_f32_e32 v53, v63, v57
	v_mul_f32_e32 v57, 0x3f2c7751, v65
	v_add_f32_e32 v48, v48, v55
	v_mul_f32_e32 v55, 0xbf1a4643, v26
	v_add_f32_e32 v58, v58, v60
	v_fma_f32 v54, 0xbf1a4643, v64, -v54
	v_fmamk_f32 v60, v64, 0x3f3d2fb0, v57
	v_mul_f32_e32 v26, 0x3f3d2fb0, v26
	v_fmamk_f32 v63, v25, 0xbf4c4adb, v55
	v_fmac_f32_e32 v55, 0x3f4c4adb, v25
	v_add_f32_e32 v54, v54, v56
	v_add_f32_e32 v56, v60, v61
	v_sub_f32_e32 v60, v22, v24
	v_add_f32_e32 v22, v22, v24
	v_add_f32_e32 v55, v55, v62
	v_fmamk_f32 v61, v25, 0xbf2c7751, v26
	v_fma_f32 v57, 0x3f3d2fb0, v64, -v57
	v_add_f32_e32 v24, v21, v23
	v_mul_f32_e32 v62, 0xbf763a35, v60
	v_fmac_f32_e32 v26, 0x3f2c7751, v25
	v_sub_f32_e32 v21, v21, v23
	v_mul_f32_e32 v23, 0xbe8c1d8e, v22
	v_add_f32_e32 v25, v61, v42
	v_fmamk_f32 v42, v24, 0xbe8c1d8e, v62
	v_add_f32_e32 v27, v57, v27
	v_add_f32_e32 v26, v26, v28
	v_fmamk_f32 v28, v21, 0x3f763a35, v23
	v_mul_f32_e32 v57, 0x3f06c442, v60
	v_fmac_f32_e32 v23, 0xbf763a35, v21
	v_add_f32_e32 v34, v42, v34
	v_fma_f32 v42, 0xbe8c1d8e, v24, -v62
	v_add_f32_e32 v28, v28, v29
	v_fmamk_f32 v29, v24, 0xbf59a7d5, v57
	v_mul_f32_e32 v61, 0xbf59a7d5, v22
	v_add_f32_e32 v23, v23, v30
	v_mul_f32_e32 v30, 0x3f2c7751, v60
	v_add_f32_e32 v33, v42, v33
	v_add_f32_e32 v29, v29, v35
	v_fmamk_f32 v35, v21, 0xbf06c442, v61
	v_fma_f32 v42, 0xbf59a7d5, v24, -v57
	v_fmamk_f32 v57, v24, 0x3f3d2fb0, v30
	v_mul_f32_e32 v62, 0x3f3d2fb0, v22
	v_fmac_f32_e32 v61, 0x3f06c442, v21
	v_add_f32_e32 v35, v35, v37
	v_add_f32_e32 v31, v42, v31
	;; [unrolled: 1-line block ×3, first 2 shown]
	v_fmamk_f32 v40, v21, 0xbf2c7751, v62
	v_mul_f32_e32 v42, 0xbf65296c, v60
	v_fma_f32 v30, 0x3f3d2fb0, v24, -v30
	v_fmac_f32_e32 v62, 0x3f2c7751, v21
	v_mul_f32_e32 v57, 0x3ee437d1, v22
	v_add_f32_e32 v32, v61, v32
	v_add_f32_e32 v38, v40, v38
	v_fmamk_f32 v40, v24, 0x3ee437d1, v42
	v_add_f32_e32 v30, v30, v36
	v_add_f32_e32 v36, v62, v41
	v_fmamk_f32 v41, v21, 0x3f65296c, v57
	v_mul_f32_e32 v61, 0xbe3c28d5, v60
	v_fma_f32 v42, 0x3ee437d1, v24, -v42
	v_fmac_f32_e32 v57, 0xbf65296c, v21
	v_add_f32_e32 v40, v40, v47
	v_add_f32_e32 v41, v41, v45
	v_fmamk_f32 v45, v24, 0xbf7ba420, v61
	v_mul_f32_e32 v47, 0xbf7ba420, v22
	v_add_f32_e32 v39, v42, v39
	v_add_f32_e32 v42, v57, v44
	v_mul_f32_e32 v44, 0x3f7ee86f, v60
	v_add_f32_e32 v45, v45, v46
	v_fmamk_f32 v46, v21, 0x3e3c28d5, v47
	v_fma_f32 v57, 0xbf7ba420, v24, -v61
	v_fmac_f32_e32 v47, 0xbe3c28d5, v21
	v_fmamk_f32 v61, v24, 0x3dbcf732, v44
	v_mul_f32_e32 v62, 0x3dbcf732, v22
	v_add_f32_e32 v46, v46, v50
	v_add_f32_e32 v43, v57, v43
	;; [unrolled: 1-line block ×4, first 2 shown]
	v_fmamk_f32 v50, v21, 0xbf7ee86f, v62
	v_mul_f32_e32 v52, 0xbeb8f4ab, v60
	v_fma_f32 v44, 0x3dbcf732, v24, -v44
	v_mul_f32_e32 v57, 0x3f6eb680, v22
	v_mul_f32_e32 v60, 0xbf4c4adb, v60
	v_add_f32_e32 v50, v50, v51
	v_fmamk_f32 v51, v24, 0x3f6eb680, v52
	v_fma_f32 v52, 0x3f6eb680, v24, -v52
	v_add_f32_e32 v59, v63, v59
	v_add_f32_e32 v44, v44, v49
	v_fmamk_f32 v49, v21, 0x3eb8f4ab, v57
	v_add_f32_e32 v51, v51, v58
	v_fmamk_f32 v58, v24, 0xbf1a4643, v60
	v_add_f32_e32 v52, v52, v54
	v_sub_f32_e32 v54, v18, v20
	v_add_f32_e32 v49, v49, v59
	v_fmac_f32_e32 v57, 0xbeb8f4ab, v21
	v_mul_f32_e32 v22, 0xbf1a4643, v22
	v_add_f32_e32 v56, v58, v56
	v_add_f32_e32 v58, v17, v19
	v_mul_f32_e32 v59, 0xbf4c4adb, v54
	v_add_f32_e32 v18, v18, v20
	v_fmac_f32_e32 v62, 0x3f7ee86f, v21
	v_add_f32_e32 v55, v57, v55
	v_fmamk_f32 v57, v21, 0x3f4c4adb, v22
	v_fma_f32 v20, 0xbf1a4643, v24, -v60
	v_fmac_f32_e32 v22, 0xbf4c4adb, v21
	v_sub_f32_e32 v17, v17, v19
	v_fmamk_f32 v19, v58, 0xbf1a4643, v59
	v_mul_f32_e32 v21, 0xbf1a4643, v18
	v_add_f32_e32 v24, v57, v25
	v_add_f32_e32 v20, v20, v27
	;; [unrolled: 1-line block ×4, first 2 shown]
	v_fmamk_f32 v25, v17, 0x3f4c4adb, v21
	v_mul_f32_e32 v26, 0x3f763a35, v54
	v_fma_f32 v27, 0xbf1a4643, v58, -v59
	v_fmac_f32_e32 v21, 0xbf4c4adb, v17
	v_mul_f32_e32 v34, 0xbe8c1d8e, v18
	v_add_f32_e32 v25, v25, v28
	v_fmamk_f32 v28, v58, 0xbe8c1d8e, v26
	v_add_f32_e32 v27, v27, v33
	v_add_f32_e32 v21, v21, v23
	v_fmamk_f32 v23, v17, 0xbf763a35, v34
	v_mul_f32_e32 v33, 0xbeb8f4ab, v54
	v_fma_f32 v26, 0xbe8c1d8e, v58, -v26
	v_fmac_f32_e32 v34, 0x3f763a35, v17
	v_add_f32_e32 v28, v28, v29
	v_add_f32_e32 v23, v23, v35
	v_fmamk_f32 v29, v58, 0x3f6eb680, v33
	v_mul_f32_e32 v35, 0x3f6eb680, v18
	v_add_f32_e32 v26, v26, v31
	v_add_f32_e32 v31, v34, v32
	v_mul_f32_e32 v32, 0xbf06c442, v54
	v_add_f32_e32 v29, v29, v37
	v_fmamk_f32 v34, v17, 0x3eb8f4ab, v35
	v_fma_f32 v33, 0x3f6eb680, v58, -v33
	v_fmac_f32_e32 v35, 0xbeb8f4ab, v17
	v_fmamk_f32 v37, v58, 0xbf59a7d5, v32
	v_mul_f32_e32 v57, 0xbf59a7d5, v18
	v_add_f32_e32 v34, v34, v38
	v_add_f32_e32 v30, v33, v30
	;; [unrolled: 1-line block ×4, first 2 shown]
	v_fmamk_f32 v36, v17, 0x3f06c442, v57
	v_mul_f32_e32 v37, 0x3f7ee86f, v54
	v_fma_f32 v32, 0xbf59a7d5, v58, -v32
	v_fmac_f32_e32 v57, 0xbf06c442, v17
	v_mul_f32_e32 v38, 0x3dbcf732, v18
	v_add_f32_e32 v36, v36, v41
	v_fmamk_f32 v40, v58, 0x3dbcf732, v37
	v_add_f32_e32 v32, v32, v39
	v_add_f32_e32 v39, v57, v42
	v_fmamk_f32 v41, v17, 0xbf7ee86f, v38
	v_mul_f32_e32 v42, 0xbf2c7751, v54
	v_fma_f32 v37, 0x3dbcf732, v58, -v37
	v_add_f32_e32 v40, v40, v45
	v_fmac_f32_e32 v38, 0x3f7ee86f, v17
	v_add_f32_e32 v41, v41, v46
	v_fmamk_f32 v45, v58, 0x3f3d2fb0, v42
	v_mul_f32_e32 v46, 0x3f3d2fb0, v18
	v_add_f32_e32 v37, v37, v43
	v_mul_f32_e32 v43, 0xbe3c28d5, v54
	v_add_f32_e32 v53, v62, v53
	v_add_f32_e32 v38, v38, v47
	;; [unrolled: 1-line block ×3, first 2 shown]
	v_fmamk_f32 v47, v17, 0x3f2c7751, v46
	v_fma_f32 v42, 0x3f3d2fb0, v58, -v42
	v_fmac_f32_e32 v46, 0xbf2c7751, v17
	v_fmamk_f32 v48, v58, 0xbf7ba420, v43
	v_mul_f32_e32 v57, 0xbf7ba420, v18
	v_mul_f32_e32 v18, 0x3ee437d1, v18
	v_add_f32_e32 v47, v47, v50
	v_add_f32_e32 v42, v42, v44
	;; [unrolled: 1-line block ×4, first 2 shown]
	v_fmamk_f32 v48, v17, 0x3e3c28d5, v57
	v_mul_f32_e32 v50, 0x3f65296c, v54
	v_fmamk_f32 v51, v17, 0xbf65296c, v18
	v_sub_f32_e32 v53, v14, v16
	v_add_f32_e32 v14, v14, v16
	v_add_f32_e32 v48, v48, v49
	v_fmamk_f32 v49, v58, 0x3ee437d1, v50
	v_add_f32_e32 v24, v51, v24
	v_add_f32_e32 v51, v13, v15
	v_mul_f32_e32 v16, 0xbf06c442, v53
	v_fma_f32 v50, 0x3ee437d1, v58, -v50
	v_fmac_f32_e32 v18, 0x3f65296c, v17
	v_sub_f32_e32 v13, v13, v15
	v_mul_f32_e32 v15, 0xbf59a7d5, v14
	v_fmac_f32_e32 v57, 0xbe3c28d5, v17
	v_fmamk_f32 v17, v51, 0xbf59a7d5, v16
	v_add_f32_e32 v20, v50, v20
	v_add_f32_e32 v18, v18, v22
	v_mul_f32_e32 v22, 0x3f65296c, v53
	v_fmamk_f32 v50, v13, 0x3f06c442, v15
	v_add_f32_e32 v17, v17, v19
	v_fma_f32 v16, 0xbf59a7d5, v51, -v16
	v_fmac_f32_e32 v15, 0xbf06c442, v13
	v_fmamk_f32 v19, v51, 0x3ee437d1, v22
	v_add_f32_e32 v25, v50, v25
	v_mul_f32_e32 v50, 0x3ee437d1, v14
	v_add_f32_e32 v16, v16, v27
	v_add_f32_e32 v15, v15, v21
	;; [unrolled: 1-line block ×3, first 2 shown]
	v_mul_f32_e32 v28, 0x3dbcf732, v14
	v_fmamk_f32 v27, v13, 0xbf65296c, v50
	v_mul_f32_e32 v21, 0xbf7ee86f, v53
	v_fma_f32 v22, 0x3ee437d1, v51, -v22
	v_fmac_f32_e32 v50, 0x3f65296c, v13
	v_fma_f32 v43, 0xbf7ba420, v58, -v43
	v_add_f32_e32 v23, v27, v23
	v_fmamk_f32 v27, v13, 0x3f7ee86f, v28
	v_fmamk_f32 v54, v51, 0x3dbcf732, v21
	v_add_f32_e32 v22, v22, v26
	v_add_f32_e32 v26, v50, v31
	v_mul_f32_e32 v31, 0x3f4c4adb, v53
	v_fma_f32 v21, 0x3dbcf732, v51, -v21
	v_fmac_f32_e32 v28, 0xbf7ee86f, v13
	v_add_f32_e32 v27, v27, v34
	v_mul_f32_e32 v34, 0xbf1a4643, v14
	v_fmamk_f32 v50, v51, 0xbf1a4643, v31
	v_add_f32_e32 v21, v21, v30
	v_add_f32_e32 v28, v28, v33
	v_mul_f32_e32 v30, 0xbeb8f4ab, v53
	v_fmamk_f32 v33, v13, 0xbf4c4adb, v34
	v_add_f32_e32 v35, v50, v35
	v_fma_f32 v31, 0xbf1a4643, v51, -v31
	v_fmac_f32_e32 v34, 0x3f4c4adb, v13
	v_fmamk_f32 v50, v51, 0x3f6eb680, v30
	v_add_f32_e32 v33, v33, v36
	v_mul_f32_e32 v36, 0x3f6eb680, v14
	v_add_f32_e32 v31, v31, v32
	v_add_f32_e32 v32, v34, v39
	v_add_f32_e32 v34, v50, v40
	v_mul_f32_e32 v39, 0xbe3c28d5, v53
	v_fmamk_f32 v40, v13, 0x3eb8f4ab, v36
	v_fma_f32 v30, 0x3f6eb680, v51, -v30
	v_mul_f32_e32 v50, 0xbf7ba420, v14
	v_add_f32_e32 v29, v54, v29
	v_fmac_f32_e32 v36, 0xbeb8f4ab, v13
	v_fmamk_f32 v54, v51, 0xbf7ba420, v39
	v_add_f32_e32 v40, v40, v41
	v_add_f32_e32 v30, v30, v37
	v_fmamk_f32 v37, v13, 0x3e3c28d5, v50
	v_mul_f32_e32 v41, 0x3f2c7751, v53
	v_fma_f32 v39, 0xbf7ba420, v51, -v39
	v_fmac_f32_e32 v50, 0xbe3c28d5, v13
	v_add_f32_e32 v36, v36, v38
	v_add_f32_e32 v38, v54, v45
	;; [unrolled: 1-line block ×3, first 2 shown]
	v_mul_f32_e32 v45, 0x3f3d2fb0, v14
	v_fmamk_f32 v47, v51, 0x3f3d2fb0, v41
	v_add_f32_e32 v39, v39, v42
	v_add_f32_e32 v42, v50, v44
	v_mul_f32_e32 v44, 0xbf763a35, v53
	v_add_f32_e32 v43, v43, v52
	v_add_f32_e32 v52, v57, v55
	;; [unrolled: 1-line block ×3, first 2 shown]
	v_fmamk_f32 v50, v13, 0xbf2c7751, v45
	v_add_f32_e32 v46, v47, v46
	v_fma_f32 v41, 0x3f3d2fb0, v51, -v41
	v_fmac_f32_e32 v45, 0x3f2c7751, v13
	v_fmamk_f32 v47, v51, 0xbe8c1d8e, v44
	v_add_f32_e32 v48, v50, v48
	v_mul_f32_e32 v14, 0xbe8c1d8e, v14
	v_add_f32_e32 v41, v41, v43
	v_add_f32_e32 v43, v45, v52
	;; [unrolled: 1-line block ×3, first 2 shown]
	v_sub_f32_e32 v47, v11, v12
	v_fma_f32 v44, 0xbe8c1d8e, v51, -v44
	v_add_f32_e32 v50, v11, v12
	v_add_f32_e32 v51, v9, v10
	v_fmamk_f32 v49, v13, 0x3f763a35, v14
	v_mul_f32_e32 v11, 0xbe3c28d5, v47
	v_fmac_f32_e32 v14, 0xbf763a35, v13
	v_sub_f32_e32 v52, v9, v10
	v_mul_f32_e32 v12, 0xbf7ba420, v50
	v_add_f32_e32 v44, v44, v20
	v_fmamk_f32 v9, v51, 0xbf7ba420, v11
	v_add_f32_e32 v53, v14, v18
	v_mul_f32_e32 v14, 0x3eb8f4ab, v47
	v_fmamk_f32 v10, v52, 0x3e3c28d5, v12
	v_fma_f32 v11, 0xbf7ba420, v51, -v11
	v_add_f32_e32 v9, v9, v17
	v_fmac_f32_e32 v12, 0xbe3c28d5, v52
	v_mul_f32_e32 v17, 0x3f6eb680, v50
	v_fmamk_f32 v13, v51, 0x3f6eb680, v14
	v_add_f32_e32 v11, v11, v16
	v_mul_f32_e32 v18, 0xbf06c442, v47
	v_add_f32_e32 v12, v12, v15
	v_fmamk_f32 v15, v52, 0xbeb8f4ab, v17
	v_fma_f32 v16, 0x3f6eb680, v51, -v14
	v_add_f32_e32 v13, v13, v19
	v_fmac_f32_e32 v17, 0x3eb8f4ab, v52
	v_fmamk_f32 v19, v51, 0xbf59a7d5, v18
	v_mul_f32_e32 v20, 0xbf59a7d5, v50
	v_add_f32_e32 v14, v15, v23
	v_add_f32_e32 v15, v16, v22
	v_mul_f32_e32 v22, 0x3f2c7751, v47
	v_add_f32_e32 v49, v49, v24
	v_add_f32_e32 v10, v10, v25
	;; [unrolled: 1-line block ×4, first 2 shown]
	v_fmamk_f32 v19, v52, 0x3f06c442, v20
	v_fma_f32 v23, 0xbf59a7d5, v51, -v18
	v_fmac_f32_e32 v20, 0xbf06c442, v52
	v_mul_f32_e32 v24, 0x3f3d2fb0, v50
	v_fmamk_f32 v25, v51, 0x3f3d2fb0, v22
	v_mul_f32_e32 v26, 0xbf4c4adb, v47
	v_add_f32_e32 v18, v19, v27
	v_add_f32_e32 v19, v23, v21
	;; [unrolled: 1-line block ×3, first 2 shown]
	v_fmamk_f32 v23, v52, 0xbf2c7751, v24
	v_add_f32_e32 v21, v25, v35
	v_fma_f32 v25, 0x3f3d2fb0, v51, -v22
	v_fmamk_f32 v27, v51, 0xbf1a4643, v26
	v_mul_f32_e32 v28, 0xbf1a4643, v50
	v_fmac_f32_e32 v24, 0x3f2c7751, v52
	v_add_f32_e32 v22, v23, v33
	v_add_f32_e32 v23, v25, v31
	v_mul_f32_e32 v31, 0x3f65296c, v47
	v_add_f32_e32 v25, v27, v34
	v_fmamk_f32 v27, v52, 0x3f4c4adb, v28
	v_fma_f32 v29, 0xbf1a4643, v51, -v26
	v_fmac_f32_e32 v28, 0xbf4c4adb, v52
	v_mul_f32_e32 v33, 0x3ee437d1, v50
	v_add_f32_e32 v24, v24, v32
	v_fmamk_f32 v32, v51, 0x3ee437d1, v31
	v_add_f32_e32 v26, v27, v40
	v_add_f32_e32 v27, v29, v30
	;; [unrolled: 1-line block ×3, first 2 shown]
	v_fmamk_f32 v30, v52, 0xbf65296c, v33
	v_mul_f32_e32 v34, 0xbf763a35, v47
	v_fma_f32 v31, 0x3ee437d1, v51, -v31
	v_mul_f32_e32 v36, 0xbe8c1d8e, v50
	v_add_f32_e32 v29, v32, v38
	v_fmac_f32_e32 v33, 0x3f65296c, v52
	v_add_f32_e32 v30, v30, v37
	v_fmamk_f32 v35, v51, 0xbe8c1d8e, v34
	v_add_f32_e32 v31, v31, v39
	v_fmamk_f32 v37, v52, 0x3f763a35, v36
	v_fma_f32 v38, 0xbe8c1d8e, v51, -v34
	v_mul_f32_e32 v39, 0x3f7ee86f, v47
	v_mul_f32_e32 v40, 0x3dbcf732, v50
	v_add_f32_e32 v32, v33, v42
	v_add_f32_e32 v33, v35, v46
	;; [unrolled: 1-line block ×4, first 2 shown]
	v_fmamk_f32 v37, v51, 0x3dbcf732, v39
	v_fmamk_f32 v38, v52, 0xbf7ee86f, v40
	v_fma_f32 v39, 0x3dbcf732, v51, -v39
	v_fmac_f32_e32 v40, 0x3f7ee86f, v52
	v_fmac_f32_e32 v36, 0xbf763a35, v52
	v_add_f32_e32 v37, v37, v45
	v_add_f32_e32 v38, v38, v49
	;; [unrolled: 1-line block ×5, first 2 shown]
	ds_write2_b64 v145, v[0:1], v[9:10] offset1:119
	ds_write2_b64 v8, v[13:14], v[17:18] offset0:110 offset1:229
	ds_write2_b64 v7, v[21:22], v[25:26] offset0:92 offset1:211
	;; [unrolled: 1-line block ×7, first 2 shown]
	ds_write_b64 v145, v[11:12] offset:15232
	s_waitcnt lgkmcnt(0)
	s_barrier
	buffer_gl0_inv
	ds_read2_b64 v[9:12], v145 offset1:119
	v_mad_u64_u32 v[16:17], null, s10, v108, 0
	v_mad_u64_u32 v[20:21], null, s8, v146, 0
	s_add_i32 s2, s3, s2
	s_mul_i32 s3, s8, 0x3b8
	s_waitcnt lgkmcnt(0)
	v_mul_f32_e32 v0, v118, v10
	v_mul_f32_e32 v1, v118, v9
	;; [unrolled: 1-line block ×4, first 2 shown]
	v_fmac_f32_e32 v0, v117, v9
	v_fma_f32 v9, v117, v10, -v1
	v_fmac_f32_e32 v13, v115, v11
	v_fma_f32 v14, v115, v12, -v14
	v_mov_b32_e32 v12, v17
	v_cvt_f64_f32_e32 v[0:1], v0
	v_cvt_f64_f32_e32 v[9:10], v9
	;; [unrolled: 1-line block ×3, first 2 shown]
	v_mov_b32_e32 v13, v21
	v_cvt_f64_f32_e32 v[24:25], v14
	v_mad_u64_u32 v[26:27], null, s11, v108, v[12:13]
	v_mad_u64_u32 v[27:28], null, s9, v146, v[13:14]
	ds_read2_b64 v[12:15], v7 offset0:92 offset1:211
	v_mov_b32_e32 v17, v26
	v_mov_b32_e32 v21, v27
	v_lshlrev_b64 v[16:17], 3, v[16:17]
	v_mul_f64 v[0:1], v[0:1], s[0:1]
	v_mul_f64 v[18:19], v[9:10], s[0:1]
	ds_read2_b64 v[8:11], v8 offset0:110 offset1:229
	v_add_co_u32 v16, vcc_lo, s4, v16
	v_add_co_ci_u32_e32 v17, vcc_lo, s5, v17, vcc_lo
	s_waitcnt lgkmcnt(1)
	v_mul_f32_e32 v30, v128, v13
	v_fmac_f32_e32 v30, v127, v12
	v_cvt_f64_f32_e32 v[30:31], v30
	s_waitcnt lgkmcnt(0)
	v_mul_f32_e32 v7, v110, v9
	v_cvt_f32_f64_e32 v0, v[0:1]
	v_cvt_f32_f64_e32 v1, v[18:19]
	v_lshlrev_b64 v[18:19], 3, v[20:21]
	v_mul_f64 v[20:21], v[22:23], s[0:1]
	v_fmac_f32_e32 v7, v109, v8
	v_mul_f32_e32 v8, v110, v8
	v_mul_f64 v[22:23], v[24:25], s[0:1]
	v_mul_f32_e32 v26, v130, v11
	v_mul_f32_e32 v27, v130, v10
	v_cvt_f64_f32_e32 v[24:25], v7
	v_fma_f32 v7, v109, v9, -v8
	v_mul_f32_e32 v9, v128, v12
	v_fmac_f32_e32 v26, v129, v10
	v_fma_f32 v8, v129, v11, -v27
	v_add_co_u32 v16, vcc_lo, v16, v18
	v_cvt_f64_f32_e32 v[10:11], v7
	v_fma_f32 v7, v127, v13, -v9
	v_cvt_f64_f32_e32 v[26:27], v26
	v_cvt_f64_f32_e32 v[28:29], v8
	v_add_co_ci_u32_e32 v17, vcc_lo, v17, v19, vcc_lo
	v_cvt_f64_f32_e32 v[12:13], v7
	ds_read2_b64 v[6:9], v6 offset0:74 offset1:193
	global_store_dwordx2 v[16:17], v[0:1], off
	v_cvt_f32_f64_e32 v0, v[20:21]
	v_add_co_u32 v16, vcc_lo, v16, s3
	v_cvt_f32_f64_e32 v1, v[22:23]
	v_add_co_ci_u32_e32 v17, vcc_lo, s2, v17, vcc_lo
	v_mul_f64 v[18:19], v[24:25], s[0:1]
	v_mul_f64 v[20:21], v[10:11], s[0:1]
	v_mul_f32_e32 v10, v126, v15
	v_mul_f32_e32 v11, v126, v14
	v_mul_f64 v[22:23], v[26:27], s[0:1]
	v_mul_f64 v[24:25], v[28:29], s[0:1]
	;; [unrolled: 1-line block ×3, first 2 shown]
	s_waitcnt lgkmcnt(0)
	v_mul_f32_e32 v30, v124, v7
	v_mul_f64 v[28:29], v[12:13], s[0:1]
	v_mul_f32_e32 v12, v124, v6
	v_fmac_f32_e32 v10, v125, v14
	v_fma_f32 v11, v125, v15, -v11
	v_fmac_f32_e32 v30, v123, v6
	v_mul_f32_e32 v34, v122, v8
	v_fma_f32 v12, v123, v7, -v12
	v_cvt_f64_f32_e32 v[6:7], v10
	v_cvt_f64_f32_e32 v[14:15], v11
	;; [unrolled: 1-line block ×3, first 2 shown]
	v_cvt_f32_f64_e32 v18, v[18:19]
	v_cvt_f64_f32_e32 v[32:33], v12
	ds_read2_b64 v[10:13], v5 offset0:56 offset1:175
	v_mul_f32_e32 v5, v122, v9
	v_cvt_f32_f64_e32 v19, v[20:21]
	v_add_co_u32 v20, vcc_lo, v16, s3
	v_cvt_f32_f64_e32 v22, v[22:23]
	v_cvt_f32_f64_e32 v23, v[24:25]
	;; [unrolled: 1-line block ×3, first 2 shown]
	v_fmac_f32_e32 v5, v121, v8
	v_cvt_f32_f64_e32 v25, v[28:29]
	v_add_co_ci_u32_e32 v21, vcc_lo, s2, v17, vcc_lo
	v_mul_f64 v[26:27], v[6:7], s[0:1]
	v_mul_f64 v[14:15], v[14:15], s[0:1]
	v_fma_f32 v6, v121, v9, -v34
	s_waitcnt lgkmcnt(0)
	v_mul_f32_e32 v7, v120, v11
	v_mul_f32_e32 v34, v120, v10
	v_mul_f64 v[28:29], v[30:31], s[0:1]
	v_cvt_f64_f32_e32 v[30:31], v5
	v_mul_f64 v[8:9], v[32:33], s[0:1]
	v_fmac_f32_e32 v7, v119, v10
	v_fma_f32 v5, v119, v11, -v34
	v_add_co_u32 v10, vcc_lo, v20, s3
	v_cvt_f64_f32_e32 v[32:33], v6
	v_cvt_f64_f32_e32 v[34:35], v7
	;; [unrolled: 1-line block ×3, first 2 shown]
	ds_read2_b64 v[4:7], v4 offset0:38 offset1:157
	v_add_co_ci_u32_e32 v11, vcc_lo, s2, v21, vcc_lo
	v_add_co_u32 v38, vcc_lo, v10, s3
	v_add_co_ci_u32_e32 v39, vcc_lo, s2, v11, vcc_lo
	global_store_dwordx2 v[16:17], v[0:1], off
	global_store_dwordx2 v[20:21], v[18:19], off
	;; [unrolled: 1-line block ×4, first 2 shown]
	v_cvt_f32_f64_e32 v0, v[26:27]
	v_cvt_f32_f64_e32 v1, v[14:15]
	v_mul_f32_e32 v24, v114, v13
	v_cvt_f32_f64_e32 v10, v[28:29]
	v_add_co_u32 v16, vcc_lo, v38, s3
	v_cvt_f32_f64_e32 v11, v[8:9]
	v_fmac_f32_e32 v24, v113, v12
	v_mul_f32_e32 v12, v114, v12
	v_mul_f64 v[8:9], v[30:31], s[0:1]
	v_mul_f64 v[14:15], v[32:33], s[0:1]
	s_waitcnt lgkmcnt(0)
	v_mul_f32_e32 v25, v112, v5
	v_mul_f32_e32 v26, v112, v4
	v_add_co_ci_u32_e32 v17, vcc_lo, s2, v39, vcc_lo
	v_fma_f32 v27, v113, v13, -v12
	v_cvt_f64_f32_e32 v[12:13], v24
	v_fmac_f32_e32 v25, v111, v4
	v_fma_f32 v24, v111, v5, -v26
	v_add_co_u32 v22, vcc_lo, v16, s3
	v_add_co_ci_u32_e32 v23, vcc_lo, s2, v17, vcc_lo
	global_store_dwordx2 v[16:17], v[0:1], off
	v_cvt_f64_f32_e32 v[16:17], v25
	v_cvt_f64_f32_e32 v[24:25], v24
	;; [unrolled: 1-line block ×3, first 2 shown]
	v_mul_f64 v[18:19], v[34:35], s[0:1]
	global_store_dwordx2 v[22:23], v[10:11], off
	v_mul_f64 v[20:21], v[36:37], s[0:1]
	v_cvt_f32_f64_e32 v26, v[8:9]
	v_cvt_f32_f64_e32 v27, v[14:15]
	ds_read2_b64 v[8:11], v3 offset0:20 offset1:139
	v_add_co_u32 v14, vcc_lo, v22, s3
	ds_read2_b64 v[0:3], v2 offset0:130 offset1:249
	v_add_co_ci_u32_e32 v15, vcc_lo, s2, v23, vcc_lo
	v_mul_f32_e32 v22, v107, v7
	v_mul_f32_e32 v23, v107, v6
	v_mul_f64 v[12:13], v[12:13], s[0:1]
	v_fmac_f32_e32 v22, v106, v6
	v_fma_f32 v28, v106, v7, -v23
	v_mul_f64 v[6:7], v[16:17], s[0:1]
	v_mul_f64 v[16:17], v[24:25], s[0:1]
	ds_read_b64 v[24:25], v145 offset:15232
	v_mul_f64 v[4:5], v[4:5], s[0:1]
	v_cvt_f64_f32_e32 v[22:23], v22
	v_cvt_f64_f32_e32 v[28:29], v28
	v_cvt_f32_f64_e32 v18, v[18:19]
	s_waitcnt lgkmcnt(2)
	v_mul_f32_e32 v30, v99, v9
	v_mul_f32_e32 v31, v99, v8
	;; [unrolled: 1-line block ×3, first 2 shown]
	s_waitcnt lgkmcnt(1)
	v_mul_f32_e32 v34, v97, v1
	v_mul_f32_e32 v33, v101, v10
	;; [unrolled: 1-line block ×4, first 2 shown]
	v_fmac_f32_e32 v30, v98, v8
	v_fmac_f32_e32 v34, v96, v0
	v_mul_f32_e32 v0, v97, v0
	v_fma_f32 v31, v98, v9, -v31
	v_cvt_f32_f64_e32 v19, v[20:21]
	v_fmac_f32_e32 v32, v100, v10
	v_fma_f32 v33, v100, v11, -v33
	v_fma_f32 v0, v96, v1, -v0
	s_waitcnt lgkmcnt(0)
	v_mul_f32_e32 v38, v105, v25
	v_mul_f32_e32 v39, v105, v24
	v_fmac_f32_e32 v36, v102, v2
	v_fma_f32 v37, v102, v3, -v37
	v_cvt_f64_f32_e32 v[8:9], v30
	v_cvt_f64_f32_e32 v[10:11], v31
	v_fmac_f32_e32 v38, v104, v24
	v_fma_f32 v39, v104, v25, -v39
	v_cvt_f64_f32_e32 v[30:31], v32
	v_cvt_f64_f32_e32 v[32:33], v33
	v_cvt_f64_f32_e32 v[34:35], v34
	v_cvt_f64_f32_e32 v[0:1], v0
	v_cvt_f64_f32_e32 v[2:3], v36
	v_cvt_f64_f32_e32 v[24:25], v37
	v_cvt_f64_f32_e32 v[36:37], v38
	v_cvt_f64_f32_e32 v[38:39], v39
	v_add_co_u32 v20, vcc_lo, v14, s3
	v_add_co_ci_u32_e32 v21, vcc_lo, s2, v15, vcc_lo
	global_store_dwordx2 v[14:15], v[26:27], off
	global_store_dwordx2 v[20:21], v[18:19], off
	v_cvt_f32_f64_e32 v12, v[12:13]
	v_cvt_f32_f64_e32 v13, v[4:5]
	v_mul_f64 v[4:5], v[22:23], s[0:1]
	v_mul_f64 v[14:15], v[28:29], s[0:1]
	v_add_co_u32 v18, vcc_lo, v20, s3
	v_mul_f64 v[8:9], v[8:9], s[0:1]
	v_mul_f64 v[10:11], v[10:11], s[0:1]
	v_add_co_ci_u32_e32 v19, vcc_lo, s2, v21, vcc_lo
	v_cvt_f32_f64_e32 v6, v[6:7]
	v_cvt_f32_f64_e32 v7, v[16:17]
	v_mul_f64 v[16:17], v[30:31], s[0:1]
	v_mul_f64 v[20:21], v[32:33], s[0:1]
	;; [unrolled: 1-line block ×8, first 2 shown]
	v_add_co_u32 v30, vcc_lo, v18, s3
	v_add_co_ci_u32_e32 v31, vcc_lo, s2, v19, vcc_lo
	v_cvt_f32_f64_e32 v4, v[4:5]
	v_cvt_f32_f64_e32 v5, v[14:15]
	v_add_co_u32 v14, vcc_lo, v30, s3
	v_add_co_ci_u32_e32 v15, vcc_lo, s2, v31, vcc_lo
	v_cvt_f32_f64_e32 v8, v[8:9]
	v_cvt_f32_f64_e32 v9, v[10:11]
	;; [unrolled: 4-line block ×3, first 2 shown]
	v_cvt_f32_f64_e32 v20, v[22:23]
	v_cvt_f32_f64_e32 v21, v[0:1]
	;; [unrolled: 1-line block ×6, first 2 shown]
	v_add_co_u32 v22, vcc_lo, v10, s3
	v_add_co_ci_u32_e32 v23, vcc_lo, s2, v11, vcc_lo
	global_store_dwordx2 v[18:19], v[12:13], off
	v_add_co_u32 v12, vcc_lo, v22, s3
	v_add_co_ci_u32_e32 v13, vcc_lo, s2, v23, vcc_lo
	global_store_dwordx2 v[30:31], v[6:7], off
	;; [unrolled: 3-line block ×4, first 2 shown]
	global_store_dwordx2 v[22:23], v[16:17], off
	global_store_dwordx2 v[12:13], v[20:21], off
	;; [unrolled: 1-line block ×4, first 2 shown]
.LBB0_10:
	s_endpgm
	.section	.rodata,"a",@progbits
	.p2align	6, 0x0
	.amdhsa_kernel bluestein_single_back_len2023_dim1_sp_op_CI_CI
		.amdhsa_group_segment_fixed_size 16184
		.amdhsa_private_segment_fixed_size 0
		.amdhsa_kernarg_size 104
		.amdhsa_user_sgpr_count 6
		.amdhsa_user_sgpr_private_segment_buffer 1
		.amdhsa_user_sgpr_dispatch_ptr 0
		.amdhsa_user_sgpr_queue_ptr 0
		.amdhsa_user_sgpr_kernarg_segment_ptr 1
		.amdhsa_user_sgpr_dispatch_id 0
		.amdhsa_user_sgpr_flat_scratch_init 0
		.amdhsa_user_sgpr_private_segment_size 0
		.amdhsa_wavefront_size32 1
		.amdhsa_uses_dynamic_stack 0
		.amdhsa_system_sgpr_private_segment_wavefront_offset 0
		.amdhsa_system_sgpr_workgroup_id_x 1
		.amdhsa_system_sgpr_workgroup_id_y 0
		.amdhsa_system_sgpr_workgroup_id_z 0
		.amdhsa_system_sgpr_workgroup_info 0
		.amdhsa_system_vgpr_workitem_id 0
		.amdhsa_next_free_vgpr 256
		.amdhsa_next_free_sgpr 20
		.amdhsa_reserve_vcc 1
		.amdhsa_reserve_flat_scratch 0
		.amdhsa_float_round_mode_32 0
		.amdhsa_float_round_mode_16_64 0
		.amdhsa_float_denorm_mode_32 3
		.amdhsa_float_denorm_mode_16_64 3
		.amdhsa_dx10_clamp 1
		.amdhsa_ieee_mode 1
		.amdhsa_fp16_overflow 0
		.amdhsa_workgroup_processor_mode 1
		.amdhsa_memory_ordered 1
		.amdhsa_forward_progress 0
		.amdhsa_shared_vgpr_count 0
		.amdhsa_exception_fp_ieee_invalid_op 0
		.amdhsa_exception_fp_denorm_src 0
		.amdhsa_exception_fp_ieee_div_zero 0
		.amdhsa_exception_fp_ieee_overflow 0
		.amdhsa_exception_fp_ieee_underflow 0
		.amdhsa_exception_fp_ieee_inexact 0
		.amdhsa_exception_int_div_zero 0
	.end_amdhsa_kernel
	.text
.Lfunc_end0:
	.size	bluestein_single_back_len2023_dim1_sp_op_CI_CI, .Lfunc_end0-bluestein_single_back_len2023_dim1_sp_op_CI_CI
                                        ; -- End function
	.section	.AMDGPU.csdata,"",@progbits
; Kernel info:
; codeLenInByte = 28788
; NumSgprs: 22
; NumVgprs: 256
; ScratchSize: 0
; MemoryBound: 0
; FloatMode: 240
; IeeeMode: 1
; LDSByteSize: 16184 bytes/workgroup (compile time only)
; SGPRBlocks: 2
; VGPRBlocks: 31
; NumSGPRsForWavesPerEU: 22
; NumVGPRsForWavesPerEU: 256
; Occupancy: 4
; WaveLimiterHint : 1
; COMPUTE_PGM_RSRC2:SCRATCH_EN: 0
; COMPUTE_PGM_RSRC2:USER_SGPR: 6
; COMPUTE_PGM_RSRC2:TRAP_HANDLER: 0
; COMPUTE_PGM_RSRC2:TGID_X_EN: 1
; COMPUTE_PGM_RSRC2:TGID_Y_EN: 0
; COMPUTE_PGM_RSRC2:TGID_Z_EN: 0
; COMPUTE_PGM_RSRC2:TIDIG_COMP_CNT: 0
	.text
	.p2alignl 6, 3214868480
	.fill 48, 4, 3214868480
	.type	__hip_cuid_6d43b735627fc6dd,@object ; @__hip_cuid_6d43b735627fc6dd
	.section	.bss,"aw",@nobits
	.globl	__hip_cuid_6d43b735627fc6dd
__hip_cuid_6d43b735627fc6dd:
	.byte	0                               ; 0x0
	.size	__hip_cuid_6d43b735627fc6dd, 1

	.ident	"AMD clang version 19.0.0git (https://github.com/RadeonOpenCompute/llvm-project roc-6.4.0 25133 c7fe45cf4b819c5991fe208aaa96edf142730f1d)"
	.section	".note.GNU-stack","",@progbits
	.addrsig
	.addrsig_sym __hip_cuid_6d43b735627fc6dd
	.amdgpu_metadata
---
amdhsa.kernels:
  - .args:
      - .actual_access:  read_only
        .address_space:  global
        .offset:         0
        .size:           8
        .value_kind:     global_buffer
      - .actual_access:  read_only
        .address_space:  global
        .offset:         8
        .size:           8
        .value_kind:     global_buffer
      - .actual_access:  read_only
        .address_space:  global
        .offset:         16
        .size:           8
        .value_kind:     global_buffer
      - .actual_access:  read_only
        .address_space:  global
        .offset:         24
        .size:           8
        .value_kind:     global_buffer
      - .actual_access:  read_only
        .address_space:  global
        .offset:         32
        .size:           8
        .value_kind:     global_buffer
      - .offset:         40
        .size:           8
        .value_kind:     by_value
      - .address_space:  global
        .offset:         48
        .size:           8
        .value_kind:     global_buffer
      - .address_space:  global
        .offset:         56
        .size:           8
        .value_kind:     global_buffer
      - .address_space:  global
        .offset:         64
        .size:           8
        .value_kind:     global_buffer
      - .address_space:  global
        .offset:         72
        .size:           8
        .value_kind:     global_buffer
      - .offset:         80
        .size:           4
        .value_kind:     by_value
      - .address_space:  global
        .offset:         88
        .size:           8
        .value_kind:     global_buffer
      - .address_space:  global
        .offset:         96
        .size:           8
        .value_kind:     global_buffer
    .group_segment_fixed_size: 16184
    .kernarg_segment_align: 8
    .kernarg_segment_size: 104
    .language:       OpenCL C
    .language_version:
      - 2
      - 0
    .max_flat_workgroup_size: 119
    .name:           bluestein_single_back_len2023_dim1_sp_op_CI_CI
    .private_segment_fixed_size: 0
    .sgpr_count:     22
    .sgpr_spill_count: 0
    .symbol:         bluestein_single_back_len2023_dim1_sp_op_CI_CI.kd
    .uniform_work_group_size: 1
    .uses_dynamic_stack: false
    .vgpr_count:     256
    .vgpr_spill_count: 0
    .wavefront_size: 32
    .workgroup_processor_mode: 1
amdhsa.target:   amdgcn-amd-amdhsa--gfx1030
amdhsa.version:
  - 1
  - 2
...

	.end_amdgpu_metadata
